;; amdgpu-corpus repo=pytorch/pytorch kind=compiled arch=gfx1250 opt=O3
	.amdgcn_target "amdgcn-amd-amdhsa--gfx1250"
	.amdhsa_code_object_version 6
	.section	.text._ZN2at6native12_GLOBAL__N_131replication_pad_backward_kernelIdEEvN5torch10headeronly6detail27GenericPackedTensorAccessorINS5_14TensorAccessorIN3c108ArrayRefIlEET_Lm3ENS4_16DefaultPtrTraitsElEENS_6detail16IndexBoundsCheckILm4ElEESB_Lm4ESC_lEENS6_INS7_ISA_KSB_Lm3ESC_lEESG_SI_Lm4ESC_lEEiiii,"axG",@progbits,_ZN2at6native12_GLOBAL__N_131replication_pad_backward_kernelIdEEvN5torch10headeronly6detail27GenericPackedTensorAccessorINS5_14TensorAccessorIN3c108ArrayRefIlEET_Lm3ENS4_16DefaultPtrTraitsElEENS_6detail16IndexBoundsCheckILm4ElEESB_Lm4ESC_lEENS6_INS7_ISA_KSB_Lm3ESC_lEESG_SI_Lm4ESC_lEEiiii,comdat
	.globl	_ZN2at6native12_GLOBAL__N_131replication_pad_backward_kernelIdEEvN5torch10headeronly6detail27GenericPackedTensorAccessorINS5_14TensorAccessorIN3c108ArrayRefIlEET_Lm3ENS4_16DefaultPtrTraitsElEENS_6detail16IndexBoundsCheckILm4ElEESB_Lm4ESC_lEENS6_INS7_ISA_KSB_Lm3ESC_lEESG_SI_Lm4ESC_lEEiiii ; -- Begin function _ZN2at6native12_GLOBAL__N_131replication_pad_backward_kernelIdEEvN5torch10headeronly6detail27GenericPackedTensorAccessorINS5_14TensorAccessorIN3c108ArrayRefIlEET_Lm3ENS4_16DefaultPtrTraitsElEENS_6detail16IndexBoundsCheckILm4ElEESB_Lm4ESC_lEENS6_INS7_ISA_KSB_Lm3ESC_lEESG_SI_Lm4ESC_lEEiiii
	.p2align	8
	.type	_ZN2at6native12_GLOBAL__N_131replication_pad_backward_kernelIdEEvN5torch10headeronly6detail27GenericPackedTensorAccessorINS5_14TensorAccessorIN3c108ArrayRefIlEET_Lm3ENS4_16DefaultPtrTraitsElEENS_6detail16IndexBoundsCheckILm4ElEESB_Lm4ESC_lEENS6_INS7_ISA_KSB_Lm3ESC_lEESG_SI_Lm4ESC_lEEiiii,@function
_ZN2at6native12_GLOBAL__N_131replication_pad_backward_kernelIdEEvN5torch10headeronly6detail27GenericPackedTensorAccessorINS5_14TensorAccessorIN3c108ArrayRefIlEET_Lm3ENS4_16DefaultPtrTraitsElEENS_6detail16IndexBoundsCheckILm4ElEESB_Lm4ESC_lEENS6_INS7_ISA_KSB_Lm3ESC_lEESG_SI_Lm4ESC_lEEiiii: ; @_ZN2at6native12_GLOBAL__N_131replication_pad_backward_kernelIdEEvN5torch10headeronly6detail27GenericPackedTensorAccessorINS5_14TensorAccessorIN3c108ArrayRefIlEET_Lm3ENS4_16DefaultPtrTraitsElEENS_6detail16IndexBoundsCheckILm4ElEESB_Lm4ESC_lEENS6_INS7_ISA_KSB_Lm3ESC_lEESG_SI_Lm4ESC_lEEiiii
; %bb.0:
	s_load_b32 s2, s[0:1], 0xac
	s_bfe_u32 s4, ttmp6, 0x4000c
	s_and_b32 s8, ttmp6, 15
	s_add_co_i32 s9, s4, 1
	s_getreg_b32 s3, hwreg(HW_REG_IB_STS2, 6, 4)
	s_mul_i32 s9, ttmp9, s9
	s_load_b128 s[4:7], s[0:1], 0x60
	s_add_co_i32 s8, s8, s9
	s_wait_kmcnt 0x0
	s_and_b32 s2, s2, 0xffff
	s_cmp_eq_u32 s3, 0
	s_cselect_b32 s8, ttmp9, s8
	s_delay_alu instid0(SALU_CYCLE_1) | instskip(SKIP_2) | instid1(VALU_DEP_1)
	v_mad_u32 v0, s8, s2, v0
	s_mul_u64 s[4:5], s[6:7], s[4:5]
	s_mov_b32 s2, exec_lo
	v_ashrrev_i32_e32 v1, 31, v0
	s_delay_alu instid0(VALU_DEP_1)
	v_cmpx_gt_i64_e64 s[4:5], v[0:1]
	s_cbranch_execz .LBB0_6
; %bb.1:
	v_dual_mov_b32 v2, 0 :: v_dual_bitop2_b32 v3, s7, v1 bitop3:0x54
                                        ; implicit-def: $vgpr4_vgpr5
	s_mov_b32 s2, exec_lo
	s_delay_alu instid0(VALU_DEP_1)
	v_cmpx_ne_u64_e32 0, v[2:3]
	s_xor_b32 s10, exec_lo, s2
	s_cbranch_execz .LBB0_3
; %bb.2:
	s_ashr_i32 s4, s7, 31
	s_mov_b32 s19, 0
	s_mov_b32 s5, s4
	v_dual_mov_b32 v9, v2 :: v_dual_ashrrev_i32 v4, 31, v1
	s_add_nc_u64 s[8:9], s[6:7], s[4:5]
	v_dual_mov_b32 v17, v2 :: v_dual_mov_b32 v3, v2
	s_xor_b64 s[8:9], s[8:9], s[4:5]
	s_delay_alu instid0(VALU_DEP_2) | instskip(SKIP_3) | instid1(VALU_DEP_1)
	v_mov_b32_e32 v5, v4
	s_cvt_f32_u32 s2, s8
	s_cvt_f32_u32 s5, s9
	s_sub_nc_u64 s[14:15], 0, s[8:9]
	v_add_nc_u64_e32 v[6:7], v[0:1], v[4:5]
	s_delay_alu instid0(SALU_CYCLE_1) | instskip(SKIP_1) | instid1(SALU_CYCLE_2)
	s_fmamk_f32 s2, s5, 0x4f800000, s2
	v_mov_b32_e32 v11, v2
	v_s_rcp_f32 s2, s2
	s_delay_alu instid0(VALU_DEP_2) | instskip(NEXT) | instid1(VALU_DEP_3)
	v_xor_b32_e32 v8, v6, v4
	v_xor_b32_e32 v10, v7, v4
	;; [unrolled: 1-line block ×3, first 2 shown]
	s_delay_alu instid0(TRANS32_DEP_1) | instskip(NEXT) | instid1(SALU_CYCLE_3)
	s_mul_f32 s2, s2, 0x5f7ffffc
	s_mul_f32 s5, s2, 0x2f800000
	s_delay_alu instid0(SALU_CYCLE_3) | instskip(NEXT) | instid1(SALU_CYCLE_3)
	s_trunc_f32 s5, s5
	s_fmamk_f32 s2, s5, 0xcf800000, s2
	s_cvt_u32_f32 s13, s5
	s_delay_alu instid0(SALU_CYCLE_2) | instskip(NEXT) | instid1(SALU_CYCLE_3)
	s_cvt_u32_f32 s12, s2
	s_mul_u64 s[16:17], s[14:15], s[12:13]
	s_delay_alu instid0(SALU_CYCLE_1)
	s_mul_hi_u32 s21, s12, s17
	s_mul_i32 s20, s12, s17
	s_mul_hi_u32 s18, s12, s16
	s_mul_i32 s5, s13, s16
	s_add_nc_u64 s[20:21], s[18:19], s[20:21]
	s_mul_hi_u32 s2, s13, s16
	s_mul_hi_u32 s11, s13, s17
	s_add_co_u32 s5, s20, s5
	s_add_co_ci_u32 s18, s21, s2
	s_mul_i32 s16, s13, s17
	s_add_co_ci_u32 s17, s11, 0
	s_delay_alu instid0(SALU_CYCLE_1) | instskip(NEXT) | instid1(SALU_CYCLE_1)
	s_add_nc_u64 s[16:17], s[18:19], s[16:17]
	s_add_co_u32 s12, s12, s16
	s_cselect_b32 s2, -1, 0
	s_delay_alu instid0(SALU_CYCLE_1) | instskip(SKIP_1) | instid1(SALU_CYCLE_1)
	s_cmp_lg_u32 s2, 0
	s_add_co_ci_u32 s13, s13, s17
	s_mul_u64 s[14:15], s[14:15], s[12:13]
	s_delay_alu instid0(SALU_CYCLE_1)
	s_mul_hi_u32 s17, s12, s15
	s_mul_i32 s16, s12, s15
	s_mul_hi_u32 s18, s12, s14
	s_mul_i32 s5, s13, s14
	s_add_nc_u64 s[16:17], s[18:19], s[16:17]
	s_mul_hi_u32 s2, s13, s14
	s_mul_hi_u32 s11, s13, s15
	s_add_co_u32 s5, s16, s5
	s_add_co_ci_u32 s18, s17, s2
	s_mul_i32 s14, s13, s15
	s_add_co_ci_u32 s15, s11, 0
	s_delay_alu instid0(SALU_CYCLE_1) | instskip(NEXT) | instid1(SALU_CYCLE_1)
	s_add_nc_u64 s[14:15], s[18:19], s[14:15]
	s_add_co_u32 s2, s12, s14
	s_cselect_b32 s5, -1, 0
	v_mul_hi_u32 v16, v8, s2
	s_cmp_lg_u32 s5, 0
	s_add_co_ci_u32 s18, s13, s15
	s_mov_b64 s[12:13], 0xffffffff
	v_mul_u64_e32 v[12:13], s[18:19], v[8:9]
	s_and_b64 s[12:13], s[2:3], s[12:13]
	v_mul_u64_e32 v[14:15], s[18:19], v[10:11]
	v_mul_u64_e32 v[6:7], s[12:13], v[10:11]
	s_delay_alu instid0(VALU_DEP_3) | instskip(NEXT) | instid1(VALU_DEP_1)
	v_add_nc_u64_e32 v[12:13], v[16:17], v[12:13]
	v_add_co_u32 v2, vcc_lo, v12, v6
	s_delay_alu instid0(VALU_DEP_2) | instskip(SKIP_1) | instid1(VALU_DEP_1)
	v_add_co_ci_u32_e32 v2, vcc_lo, v13, v7, vcc_lo
	v_add_co_ci_u32_e32 v15, vcc_lo, 0, v15, vcc_lo
	v_add_nc_u64_e32 v[2:3], v[2:3], v[14:15]
	s_delay_alu instid0(VALU_DEP_1) | instskip(NEXT) | instid1(VALU_DEP_1)
	v_mul_u64_e32 v[6:7], s[8:9], v[2:3]
	v_sub_nc_u32_e32 v5, v10, v7
	s_delay_alu instid0(VALU_DEP_2) | instskip(NEXT) | instid1(VALU_DEP_1)
	v_sub_co_u32 v6, vcc_lo, v8, v6
	v_sub_co_ci_u32_e64 v10, null, v10, v7, vcc_lo
	s_delay_alu instid0(VALU_DEP_3) | instskip(NEXT) | instid1(VALU_DEP_3)
	v_subrev_co_ci_u32_e64 v5, null, s9, v5, vcc_lo
	v_sub_co_u32 v8, s2, v6, s8
	s_delay_alu instid0(VALU_DEP_1) | instskip(NEXT) | instid1(VALU_DEP_2)
	v_subrev_co_ci_u32_e64 v5, null, 0, v5, s2
	v_cmp_le_u32_e32 vcc_lo, s8, v8
	v_cndmask_b32_e64 v7, 0, -1, vcc_lo
	s_delay_alu instid0(VALU_DEP_3)
	v_cmp_le_u32_e32 vcc_lo, s9, v5
	v_cndmask_b32_e64 v8, 0, -1, vcc_lo
	v_cmp_le_u32_e32 vcc_lo, s8, v6
	v_cndmask_b32_e64 v11, 0, -1, vcc_lo
	;; [unrolled: 2-line block ×3, first 2 shown]
	v_cmp_eq_u32_e32 vcc_lo, s9, v5
	v_cndmask_b32_e32 v5, v8, v7, vcc_lo
	v_cmp_eq_u32_e32 vcc_lo, s9, v10
	v_add_nc_u64_e32 v[6:7], 2, v[2:3]
	v_add_nc_u64_e32 v[8:9], 1, v[2:3]
	v_cndmask_b32_e32 v10, v12, v11, vcc_lo
	v_cmp_ne_u32_e32 vcc_lo, 0, v5
	s_delay_alu instid0(VALU_DEP_2) | instskip(NEXT) | instid1(VALU_DEP_4)
	v_cmp_ne_u32_e64 s2, 0, v10
	v_dual_cndmask_b32 v6, v8, v6 :: v_dual_cndmask_b32 v5, v9, v7
	s_delay_alu instid0(VALU_DEP_1) | instskip(NEXT) | instid1(VALU_DEP_1)
	v_dual_cndmask_b32 v2, v2, v6, s2 :: v_dual_cndmask_b32 v3, v3, v5, s2
	v_dual_mov_b32 v5, v4 :: v_dual_bitop2_b32 v2, v2, v4 bitop3:0x14
	s_delay_alu instid0(VALU_DEP_2) | instskip(NEXT) | instid1(VALU_DEP_1)
	v_xor_b32_e32 v3, v3, v4
	v_sub_nc_u64_e32 v[4:5], v[2:3], v[4:5]
.LBB0_3:
	s_and_not1_saveexec_b32 s2, s10
	s_cbranch_execz .LBB0_5
; %bb.4:
	v_cvt_f32_u32_e32 v2, s6
	s_sub_co_i32 s4, 0, s6
	s_delay_alu instid0(VALU_DEP_1) | instskip(SKIP_1) | instid1(TRANS32_DEP_1)
	v_rcp_iflag_f32_e32 v2, v2
	v_nop
	v_mul_f32_e32 v2, 0x4f7ffffe, v2
	s_delay_alu instid0(VALU_DEP_1) | instskip(NEXT) | instid1(VALU_DEP_1)
	v_cvt_u32_f32_e32 v2, v2
	v_mul_lo_u32 v3, s4, v2
	s_delay_alu instid0(VALU_DEP_1) | instskip(NEXT) | instid1(VALU_DEP_1)
	v_mul_hi_u32 v3, v2, v3
	v_add_nc_u32_e32 v2, v2, v3
	s_delay_alu instid0(VALU_DEP_1) | instskip(NEXT) | instid1(VALU_DEP_1)
	v_mul_hi_u32 v2, v0, v2
	v_mul_lo_u32 v3, v2, s6
	s_delay_alu instid0(VALU_DEP_1) | instskip(NEXT) | instid1(VALU_DEP_1)
	v_dual_add_nc_u32 v4, 1, v2 :: v_dual_sub_nc_u32 v3, v0, v3
	v_subrev_nc_u32_e32 v5, s6, v3
	v_cmp_le_u32_e32 vcc_lo, s6, v3
	s_delay_alu instid0(VALU_DEP_2) | instskip(NEXT) | instid1(VALU_DEP_4)
	v_dual_cndmask_b32 v3, v3, v5, vcc_lo :: v_dual_mov_b32 v5, 0
	v_cndmask_b32_e32 v2, v2, v4, vcc_lo
	s_delay_alu instid0(VALU_DEP_2) | instskip(NEXT) | instid1(VALU_DEP_2)
	v_cmp_le_u32_e32 vcc_lo, s6, v3
	v_add_nc_u32_e32 v4, 1, v2
	s_delay_alu instid0(VALU_DEP_1)
	v_cndmask_b32_e32 v4, v2, v4, vcc_lo
.LBB0_5:
	s_or_b32 exec_lo, exec_lo, s2
	s_delay_alu instid0(VALU_DEP_1)
	v_mul_u64_e32 v[2:3], s[6:7], v[4:5]
	s_load_b256 s[4:11], s[0:1], 0x70
	v_ashrrev_i32_e32 v5, 31, v4
	s_load_b128 s[12:15], s[0:1], 0x90
	s_bfe_u32 s2, ttmp6, 0x40014
	s_lshr_b32 s16, ttmp7, 16
	s_add_co_i32 s2, s2, 1
	s_bfe_u32 s17, ttmp6, 0x40008
	s_mul_i32 s2, s16, s2
	s_bfe_u32 s18, ttmp6, 0x40004
	s_add_co_i32 s17, s17, s2
	s_delay_alu instid0(VALU_DEP_2) | instskip(SKIP_3) | instid1(VALU_DEP_2)
	v_sub_nc_u64_e32 v[0:1], v[0:1], v[2:3]
	s_wait_kmcnt 0x0
	v_mul_u64_e32 v[2:3], s[8:9], v[4:5]
	s_load_b64 s[8:9], s[0:1], 0x48
	v_mul_u64_e32 v[6:7], s[10:11], v[0:1]
	s_bfe_u32 s10, ttmp6, 0x40010
	s_and_b32 s11, ttmp7, 0xffff
	s_add_co_i32 s10, s10, 1
	s_delay_alu instid0(SALU_CYCLE_1) | instskip(NEXT) | instid1(SALU_CYCLE_1)
	s_mul_i32 s10, s11, s10
	s_add_co_i32 s18, s18, s10
	s_cmp_eq_u32 s3, 0
	s_cselect_b32 s2, s16, s17
	s_cselect_b32 s3, s11, s18
	s_add_co_i32 s2, s15, s2
	s_add_co_i32 s14, s14, s3
	s_ashr_i32 s3, s2, 31
	s_ashr_i32 s15, s14, 31
	s_mul_u64 s[4:5], s[4:5], s[2:3]
	s_mul_u64 s[6:7], s[6:7], s[14:15]
	s_lshl_b64 s[4:5], s[4:5], 3
	s_load_b128 s[16:19], s[0:1], 0x38
	s_wait_kmcnt 0x0
	s_add_nc_u64 s[4:5], s[8:9], s[4:5]
	s_lshl_b64 s[6:7], s[6:7], 3
	s_delay_alu instid0(SALU_CYCLE_1)
	s_add_nc_u64 s[4:5], s[4:5], s[6:7]
	s_delay_alu instid0(VALU_DEP_2) | instid1(SALU_CYCLE_1)
	v_lshl_add_u64 v[2:3], v[2:3], 3, s[4:5]
	s_load_b256 s[4:11], s[0:1], 0x18
	s_wait_kmcnt 0x0
	s_sub_co_i32 s7, 0, s12
	s_sub_co_i32 s5, 0, s13
	s_max_i32 s7, s7, 0
	s_max_i32 s5, s5, 0
	s_delay_alu instid0(VALU_DEP_2)
	v_lshl_add_u64 v[2:3], v[6:7], 3, v[2:3]
	s_load_b64 s[0:1], s[0:1], 0x0
	global_load_b64 v[2:3], v[2:3], off
	s_add_co_i32 s4, s12, s4
	s_add_co_i32 s6, s13, s6
	s_add_co_i32 s4, s4, -1
	s_add_co_i32 s6, s6, -1
	v_maxmin_i32 v1, s12, v4, s4
	s_max_i32 s4, s12, 0
	v_maxmin_i32 v0, s13, v0, s6
	s_sub_co_i32 s4, s7, s4
	s_mul_u64 s[2:3], s[8:9], s[2:3]
	v_add_nc_u32_e32 v4, s4, v1
	s_max_i32 s4, s13, 0
	s_lshl_b64 s[2:3], s[2:3], 3
	s_sub_co_i32 s4, s5, s4
	s_wait_kmcnt 0x0
	s_add_nc_u64 s[0:1], s[0:1], s[2:3]
	v_ashrrev_i32_e32 v5, 31, v4
	v_add_nc_u32_e32 v0, s4, v0
	s_mul_u64 s[4:5], s[10:11], s[14:15]
	s_delay_alu instid0(SALU_CYCLE_1) | instskip(NEXT) | instid1(VALU_DEP_2)
	s_lshl_b64 s[2:3], s[4:5], 3
	v_mul_u64_e32 v[4:5], s[16:17], v[4:5]
	s_delay_alu instid0(VALU_DEP_2) | instskip(SKIP_1) | instid1(VALU_DEP_1)
	v_ashrrev_i32_e32 v1, 31, v0
	s_add_nc_u64 s[0:1], s[0:1], s[2:3]
	v_mul_u64_e32 v[0:1], s[18:19], v[0:1]
	s_delay_alu instid0(VALU_DEP_3) | instskip(NEXT) | instid1(VALU_DEP_1)
	v_lshl_add_u64 v[4:5], v[4:5], 3, s[0:1]
	v_lshl_add_u64 v[0:1], v[0:1], 3, v[4:5]
	s_wait_xcnt 0x0
	s_wait_loadcnt 0x0
	global_atomic_add_f64 v[0:1], v[2:3], off scope:SCOPE_DEV
.LBB0_6:
	s_endpgm
	.section	.rodata,"a",@progbits
	.p2align	6, 0x0
	.amdhsa_kernel _ZN2at6native12_GLOBAL__N_131replication_pad_backward_kernelIdEEvN5torch10headeronly6detail27GenericPackedTensorAccessorINS5_14TensorAccessorIN3c108ArrayRefIlEET_Lm3ENS4_16DefaultPtrTraitsElEENS_6detail16IndexBoundsCheckILm4ElEESB_Lm4ESC_lEENS6_INS7_ISA_KSB_Lm3ESC_lEESG_SI_Lm4ESC_lEEiiii
		.amdhsa_group_segment_fixed_size 0
		.amdhsa_private_segment_fixed_size 0
		.amdhsa_kernarg_size 416
		.amdhsa_user_sgpr_count 2
		.amdhsa_user_sgpr_dispatch_ptr 0
		.amdhsa_user_sgpr_queue_ptr 0
		.amdhsa_user_sgpr_kernarg_segment_ptr 1
		.amdhsa_user_sgpr_dispatch_id 0
		.amdhsa_user_sgpr_kernarg_preload_length 0
		.amdhsa_user_sgpr_kernarg_preload_offset 0
		.amdhsa_user_sgpr_private_segment_size 0
		.amdhsa_wavefront_size32 1
		.amdhsa_uses_dynamic_stack 0
		.amdhsa_enable_private_segment 0
		.amdhsa_system_sgpr_workgroup_id_x 1
		.amdhsa_system_sgpr_workgroup_id_y 1
		.amdhsa_system_sgpr_workgroup_id_z 1
		.amdhsa_system_sgpr_workgroup_info 0
		.amdhsa_system_vgpr_workitem_id 0
		.amdhsa_next_free_vgpr 18
		.amdhsa_next_free_sgpr 22
		.amdhsa_named_barrier_count 0
		.amdhsa_reserve_vcc 1
		.amdhsa_float_round_mode_32 0
		.amdhsa_float_round_mode_16_64 0
		.amdhsa_float_denorm_mode_32 3
		.amdhsa_float_denorm_mode_16_64 3
		.amdhsa_fp16_overflow 0
		.amdhsa_memory_ordered 1
		.amdhsa_forward_progress 1
		.amdhsa_inst_pref_size 11
		.amdhsa_round_robin_scheduling 0
		.amdhsa_exception_fp_ieee_invalid_op 0
		.amdhsa_exception_fp_denorm_src 0
		.amdhsa_exception_fp_ieee_div_zero 0
		.amdhsa_exception_fp_ieee_overflow 0
		.amdhsa_exception_fp_ieee_underflow 0
		.amdhsa_exception_fp_ieee_inexact 0
		.amdhsa_exception_int_div_zero 0
	.end_amdhsa_kernel
	.section	.text._ZN2at6native12_GLOBAL__N_131replication_pad_backward_kernelIdEEvN5torch10headeronly6detail27GenericPackedTensorAccessorINS5_14TensorAccessorIN3c108ArrayRefIlEET_Lm3ENS4_16DefaultPtrTraitsElEENS_6detail16IndexBoundsCheckILm4ElEESB_Lm4ESC_lEENS6_INS7_ISA_KSB_Lm3ESC_lEESG_SI_Lm4ESC_lEEiiii,"axG",@progbits,_ZN2at6native12_GLOBAL__N_131replication_pad_backward_kernelIdEEvN5torch10headeronly6detail27GenericPackedTensorAccessorINS5_14TensorAccessorIN3c108ArrayRefIlEET_Lm3ENS4_16DefaultPtrTraitsElEENS_6detail16IndexBoundsCheckILm4ElEESB_Lm4ESC_lEENS6_INS7_ISA_KSB_Lm3ESC_lEESG_SI_Lm4ESC_lEEiiii,comdat
.Lfunc_end0:
	.size	_ZN2at6native12_GLOBAL__N_131replication_pad_backward_kernelIdEEvN5torch10headeronly6detail27GenericPackedTensorAccessorINS5_14TensorAccessorIN3c108ArrayRefIlEET_Lm3ENS4_16DefaultPtrTraitsElEENS_6detail16IndexBoundsCheckILm4ElEESB_Lm4ESC_lEENS6_INS7_ISA_KSB_Lm3ESC_lEESG_SI_Lm4ESC_lEEiiii, .Lfunc_end0-_ZN2at6native12_GLOBAL__N_131replication_pad_backward_kernelIdEEvN5torch10headeronly6detail27GenericPackedTensorAccessorINS5_14TensorAccessorIN3c108ArrayRefIlEET_Lm3ENS4_16DefaultPtrTraitsElEENS_6detail16IndexBoundsCheckILm4ElEESB_Lm4ESC_lEENS6_INS7_ISA_KSB_Lm3ESC_lEESG_SI_Lm4ESC_lEEiiii
                                        ; -- End function
	.set _ZN2at6native12_GLOBAL__N_131replication_pad_backward_kernelIdEEvN5torch10headeronly6detail27GenericPackedTensorAccessorINS5_14TensorAccessorIN3c108ArrayRefIlEET_Lm3ENS4_16DefaultPtrTraitsElEENS_6detail16IndexBoundsCheckILm4ElEESB_Lm4ESC_lEENS6_INS7_ISA_KSB_Lm3ESC_lEESG_SI_Lm4ESC_lEEiiii.num_vgpr, 18
	.set _ZN2at6native12_GLOBAL__N_131replication_pad_backward_kernelIdEEvN5torch10headeronly6detail27GenericPackedTensorAccessorINS5_14TensorAccessorIN3c108ArrayRefIlEET_Lm3ENS4_16DefaultPtrTraitsElEENS_6detail16IndexBoundsCheckILm4ElEESB_Lm4ESC_lEENS6_INS7_ISA_KSB_Lm3ESC_lEESG_SI_Lm4ESC_lEEiiii.num_agpr, 0
	.set _ZN2at6native12_GLOBAL__N_131replication_pad_backward_kernelIdEEvN5torch10headeronly6detail27GenericPackedTensorAccessorINS5_14TensorAccessorIN3c108ArrayRefIlEET_Lm3ENS4_16DefaultPtrTraitsElEENS_6detail16IndexBoundsCheckILm4ElEESB_Lm4ESC_lEENS6_INS7_ISA_KSB_Lm3ESC_lEESG_SI_Lm4ESC_lEEiiii.numbered_sgpr, 22
	.set _ZN2at6native12_GLOBAL__N_131replication_pad_backward_kernelIdEEvN5torch10headeronly6detail27GenericPackedTensorAccessorINS5_14TensorAccessorIN3c108ArrayRefIlEET_Lm3ENS4_16DefaultPtrTraitsElEENS_6detail16IndexBoundsCheckILm4ElEESB_Lm4ESC_lEENS6_INS7_ISA_KSB_Lm3ESC_lEESG_SI_Lm4ESC_lEEiiii.num_named_barrier, 0
	.set _ZN2at6native12_GLOBAL__N_131replication_pad_backward_kernelIdEEvN5torch10headeronly6detail27GenericPackedTensorAccessorINS5_14TensorAccessorIN3c108ArrayRefIlEET_Lm3ENS4_16DefaultPtrTraitsElEENS_6detail16IndexBoundsCheckILm4ElEESB_Lm4ESC_lEENS6_INS7_ISA_KSB_Lm3ESC_lEESG_SI_Lm4ESC_lEEiiii.private_seg_size, 0
	.set _ZN2at6native12_GLOBAL__N_131replication_pad_backward_kernelIdEEvN5torch10headeronly6detail27GenericPackedTensorAccessorINS5_14TensorAccessorIN3c108ArrayRefIlEET_Lm3ENS4_16DefaultPtrTraitsElEENS_6detail16IndexBoundsCheckILm4ElEESB_Lm4ESC_lEENS6_INS7_ISA_KSB_Lm3ESC_lEESG_SI_Lm4ESC_lEEiiii.uses_vcc, 1
	.set _ZN2at6native12_GLOBAL__N_131replication_pad_backward_kernelIdEEvN5torch10headeronly6detail27GenericPackedTensorAccessorINS5_14TensorAccessorIN3c108ArrayRefIlEET_Lm3ENS4_16DefaultPtrTraitsElEENS_6detail16IndexBoundsCheckILm4ElEESB_Lm4ESC_lEENS6_INS7_ISA_KSB_Lm3ESC_lEESG_SI_Lm4ESC_lEEiiii.uses_flat_scratch, 0
	.set _ZN2at6native12_GLOBAL__N_131replication_pad_backward_kernelIdEEvN5torch10headeronly6detail27GenericPackedTensorAccessorINS5_14TensorAccessorIN3c108ArrayRefIlEET_Lm3ENS4_16DefaultPtrTraitsElEENS_6detail16IndexBoundsCheckILm4ElEESB_Lm4ESC_lEENS6_INS7_ISA_KSB_Lm3ESC_lEESG_SI_Lm4ESC_lEEiiii.has_dyn_sized_stack, 0
	.set _ZN2at6native12_GLOBAL__N_131replication_pad_backward_kernelIdEEvN5torch10headeronly6detail27GenericPackedTensorAccessorINS5_14TensorAccessorIN3c108ArrayRefIlEET_Lm3ENS4_16DefaultPtrTraitsElEENS_6detail16IndexBoundsCheckILm4ElEESB_Lm4ESC_lEENS6_INS7_ISA_KSB_Lm3ESC_lEESG_SI_Lm4ESC_lEEiiii.has_recursion, 0
	.set _ZN2at6native12_GLOBAL__N_131replication_pad_backward_kernelIdEEvN5torch10headeronly6detail27GenericPackedTensorAccessorINS5_14TensorAccessorIN3c108ArrayRefIlEET_Lm3ENS4_16DefaultPtrTraitsElEENS_6detail16IndexBoundsCheckILm4ElEESB_Lm4ESC_lEENS6_INS7_ISA_KSB_Lm3ESC_lEESG_SI_Lm4ESC_lEEiiii.has_indirect_call, 0
	.section	.AMDGPU.csdata,"",@progbits
; Kernel info:
; codeLenInByte = 1288
; TotalNumSgprs: 24
; NumVgprs: 18
; ScratchSize: 0
; MemoryBound: 0
; FloatMode: 240
; IeeeMode: 1
; LDSByteSize: 0 bytes/workgroup (compile time only)
; SGPRBlocks: 0
; VGPRBlocks: 1
; NumSGPRsForWavesPerEU: 24
; NumVGPRsForWavesPerEU: 18
; NamedBarCnt: 0
; Occupancy: 16
; WaveLimiterHint : 1
; COMPUTE_PGM_RSRC2:SCRATCH_EN: 0
; COMPUTE_PGM_RSRC2:USER_SGPR: 2
; COMPUTE_PGM_RSRC2:TRAP_HANDLER: 0
; COMPUTE_PGM_RSRC2:TGID_X_EN: 1
; COMPUTE_PGM_RSRC2:TGID_Y_EN: 1
; COMPUTE_PGM_RSRC2:TGID_Z_EN: 1
; COMPUTE_PGM_RSRC2:TIDIG_COMP_CNT: 0
	.section	.text._ZN2at6native12_GLOBAL__N_131replication_pad_backward_kernelIfEEvN5torch10headeronly6detail27GenericPackedTensorAccessorINS5_14TensorAccessorIN3c108ArrayRefIlEET_Lm3ENS4_16DefaultPtrTraitsElEENS_6detail16IndexBoundsCheckILm4ElEESB_Lm4ESC_lEENS6_INS7_ISA_KSB_Lm3ESC_lEESG_SI_Lm4ESC_lEEiiii,"axG",@progbits,_ZN2at6native12_GLOBAL__N_131replication_pad_backward_kernelIfEEvN5torch10headeronly6detail27GenericPackedTensorAccessorINS5_14TensorAccessorIN3c108ArrayRefIlEET_Lm3ENS4_16DefaultPtrTraitsElEENS_6detail16IndexBoundsCheckILm4ElEESB_Lm4ESC_lEENS6_INS7_ISA_KSB_Lm3ESC_lEESG_SI_Lm4ESC_lEEiiii,comdat
	.globl	_ZN2at6native12_GLOBAL__N_131replication_pad_backward_kernelIfEEvN5torch10headeronly6detail27GenericPackedTensorAccessorINS5_14TensorAccessorIN3c108ArrayRefIlEET_Lm3ENS4_16DefaultPtrTraitsElEENS_6detail16IndexBoundsCheckILm4ElEESB_Lm4ESC_lEENS6_INS7_ISA_KSB_Lm3ESC_lEESG_SI_Lm4ESC_lEEiiii ; -- Begin function _ZN2at6native12_GLOBAL__N_131replication_pad_backward_kernelIfEEvN5torch10headeronly6detail27GenericPackedTensorAccessorINS5_14TensorAccessorIN3c108ArrayRefIlEET_Lm3ENS4_16DefaultPtrTraitsElEENS_6detail16IndexBoundsCheckILm4ElEESB_Lm4ESC_lEENS6_INS7_ISA_KSB_Lm3ESC_lEESG_SI_Lm4ESC_lEEiiii
	.p2align	8
	.type	_ZN2at6native12_GLOBAL__N_131replication_pad_backward_kernelIfEEvN5torch10headeronly6detail27GenericPackedTensorAccessorINS5_14TensorAccessorIN3c108ArrayRefIlEET_Lm3ENS4_16DefaultPtrTraitsElEENS_6detail16IndexBoundsCheckILm4ElEESB_Lm4ESC_lEENS6_INS7_ISA_KSB_Lm3ESC_lEESG_SI_Lm4ESC_lEEiiii,@function
_ZN2at6native12_GLOBAL__N_131replication_pad_backward_kernelIfEEvN5torch10headeronly6detail27GenericPackedTensorAccessorINS5_14TensorAccessorIN3c108ArrayRefIlEET_Lm3ENS4_16DefaultPtrTraitsElEENS_6detail16IndexBoundsCheckILm4ElEESB_Lm4ESC_lEENS6_INS7_ISA_KSB_Lm3ESC_lEESG_SI_Lm4ESC_lEEiiii: ; @_ZN2at6native12_GLOBAL__N_131replication_pad_backward_kernelIfEEvN5torch10headeronly6detail27GenericPackedTensorAccessorINS5_14TensorAccessorIN3c108ArrayRefIlEET_Lm3ENS4_16DefaultPtrTraitsElEENS_6detail16IndexBoundsCheckILm4ElEESB_Lm4ESC_lEENS6_INS7_ISA_KSB_Lm3ESC_lEESG_SI_Lm4ESC_lEEiiii
; %bb.0:
	s_load_b32 s2, s[0:1], 0xac
	s_bfe_u32 s4, ttmp6, 0x4000c
	s_and_b32 s8, ttmp6, 15
	s_add_co_i32 s9, s4, 1
	s_getreg_b32 s3, hwreg(HW_REG_IB_STS2, 6, 4)
	s_mul_i32 s9, ttmp9, s9
	s_load_b128 s[4:7], s[0:1], 0x60
	s_add_co_i32 s8, s8, s9
	s_wait_kmcnt 0x0
	s_and_b32 s2, s2, 0xffff
	s_cmp_eq_u32 s3, 0
	s_cselect_b32 s8, ttmp9, s8
	s_delay_alu instid0(SALU_CYCLE_1) | instskip(SKIP_2) | instid1(VALU_DEP_1)
	v_mad_u32 v0, s8, s2, v0
	s_mul_u64 s[4:5], s[6:7], s[4:5]
	s_mov_b32 s2, exec_lo
	v_ashrrev_i32_e32 v1, 31, v0
	s_delay_alu instid0(VALU_DEP_1)
	v_cmpx_gt_i64_e64 s[4:5], v[0:1]
	s_cbranch_execz .LBB1_6
; %bb.1:
	v_dual_mov_b32 v2, 0 :: v_dual_bitop2_b32 v3, s7, v1 bitop3:0x54
                                        ; implicit-def: $vgpr4_vgpr5
	s_mov_b32 s2, exec_lo
	s_delay_alu instid0(VALU_DEP_1)
	v_cmpx_ne_u64_e32 0, v[2:3]
	s_xor_b32 s10, exec_lo, s2
	s_cbranch_execz .LBB1_3
; %bb.2:
	s_ashr_i32 s4, s7, 31
	s_mov_b32 s19, 0
	s_mov_b32 s5, s4
	v_dual_mov_b32 v9, v2 :: v_dual_ashrrev_i32 v4, 31, v1
	s_add_nc_u64 s[8:9], s[6:7], s[4:5]
	v_dual_mov_b32 v17, v2 :: v_dual_mov_b32 v3, v2
	s_xor_b64 s[8:9], s[8:9], s[4:5]
	s_delay_alu instid0(VALU_DEP_2) | instskip(SKIP_3) | instid1(VALU_DEP_1)
	v_mov_b32_e32 v5, v4
	s_cvt_f32_u32 s2, s8
	s_cvt_f32_u32 s5, s9
	s_sub_nc_u64 s[14:15], 0, s[8:9]
	v_add_nc_u64_e32 v[6:7], v[0:1], v[4:5]
	s_delay_alu instid0(SALU_CYCLE_1) | instskip(SKIP_1) | instid1(SALU_CYCLE_2)
	s_fmamk_f32 s2, s5, 0x4f800000, s2
	v_mov_b32_e32 v11, v2
	v_s_rcp_f32 s2, s2
	s_delay_alu instid0(VALU_DEP_2) | instskip(NEXT) | instid1(VALU_DEP_3)
	v_xor_b32_e32 v8, v6, v4
	v_xor_b32_e32 v10, v7, v4
	;; [unrolled: 1-line block ×3, first 2 shown]
	s_delay_alu instid0(TRANS32_DEP_1) | instskip(NEXT) | instid1(SALU_CYCLE_3)
	s_mul_f32 s2, s2, 0x5f7ffffc
	s_mul_f32 s5, s2, 0x2f800000
	s_delay_alu instid0(SALU_CYCLE_3) | instskip(NEXT) | instid1(SALU_CYCLE_3)
	s_trunc_f32 s5, s5
	s_fmamk_f32 s2, s5, 0xcf800000, s2
	s_cvt_u32_f32 s13, s5
	s_delay_alu instid0(SALU_CYCLE_2) | instskip(NEXT) | instid1(SALU_CYCLE_3)
	s_cvt_u32_f32 s12, s2
	s_mul_u64 s[16:17], s[14:15], s[12:13]
	s_delay_alu instid0(SALU_CYCLE_1)
	s_mul_hi_u32 s21, s12, s17
	s_mul_i32 s20, s12, s17
	s_mul_hi_u32 s18, s12, s16
	s_mul_i32 s5, s13, s16
	s_add_nc_u64 s[20:21], s[18:19], s[20:21]
	s_mul_hi_u32 s2, s13, s16
	s_mul_hi_u32 s11, s13, s17
	s_add_co_u32 s5, s20, s5
	s_add_co_ci_u32 s18, s21, s2
	s_mul_i32 s16, s13, s17
	s_add_co_ci_u32 s17, s11, 0
	s_delay_alu instid0(SALU_CYCLE_1) | instskip(NEXT) | instid1(SALU_CYCLE_1)
	s_add_nc_u64 s[16:17], s[18:19], s[16:17]
	s_add_co_u32 s12, s12, s16
	s_cselect_b32 s2, -1, 0
	s_delay_alu instid0(SALU_CYCLE_1) | instskip(SKIP_1) | instid1(SALU_CYCLE_1)
	s_cmp_lg_u32 s2, 0
	s_add_co_ci_u32 s13, s13, s17
	s_mul_u64 s[14:15], s[14:15], s[12:13]
	s_delay_alu instid0(SALU_CYCLE_1)
	s_mul_hi_u32 s17, s12, s15
	s_mul_i32 s16, s12, s15
	s_mul_hi_u32 s18, s12, s14
	s_mul_i32 s5, s13, s14
	s_add_nc_u64 s[16:17], s[18:19], s[16:17]
	s_mul_hi_u32 s2, s13, s14
	s_mul_hi_u32 s11, s13, s15
	s_add_co_u32 s5, s16, s5
	s_add_co_ci_u32 s18, s17, s2
	s_mul_i32 s14, s13, s15
	s_add_co_ci_u32 s15, s11, 0
	s_delay_alu instid0(SALU_CYCLE_1) | instskip(NEXT) | instid1(SALU_CYCLE_1)
	s_add_nc_u64 s[14:15], s[18:19], s[14:15]
	s_add_co_u32 s2, s12, s14
	s_cselect_b32 s5, -1, 0
	v_mul_hi_u32 v16, v8, s2
	s_cmp_lg_u32 s5, 0
	s_add_co_ci_u32 s18, s13, s15
	s_mov_b64 s[12:13], 0xffffffff
	v_mul_u64_e32 v[12:13], s[18:19], v[8:9]
	s_and_b64 s[12:13], s[2:3], s[12:13]
	v_mul_u64_e32 v[14:15], s[18:19], v[10:11]
	v_mul_u64_e32 v[6:7], s[12:13], v[10:11]
	s_delay_alu instid0(VALU_DEP_3) | instskip(NEXT) | instid1(VALU_DEP_1)
	v_add_nc_u64_e32 v[12:13], v[16:17], v[12:13]
	v_add_co_u32 v2, vcc_lo, v12, v6
	s_delay_alu instid0(VALU_DEP_2) | instskip(SKIP_1) | instid1(VALU_DEP_1)
	v_add_co_ci_u32_e32 v2, vcc_lo, v13, v7, vcc_lo
	v_add_co_ci_u32_e32 v15, vcc_lo, 0, v15, vcc_lo
	v_add_nc_u64_e32 v[2:3], v[2:3], v[14:15]
	s_delay_alu instid0(VALU_DEP_1) | instskip(NEXT) | instid1(VALU_DEP_1)
	v_mul_u64_e32 v[6:7], s[8:9], v[2:3]
	v_sub_nc_u32_e32 v5, v10, v7
	s_delay_alu instid0(VALU_DEP_2) | instskip(NEXT) | instid1(VALU_DEP_1)
	v_sub_co_u32 v6, vcc_lo, v8, v6
	v_sub_co_ci_u32_e64 v10, null, v10, v7, vcc_lo
	s_delay_alu instid0(VALU_DEP_3) | instskip(NEXT) | instid1(VALU_DEP_3)
	v_subrev_co_ci_u32_e64 v5, null, s9, v5, vcc_lo
	v_sub_co_u32 v8, s2, v6, s8
	s_delay_alu instid0(VALU_DEP_1) | instskip(NEXT) | instid1(VALU_DEP_2)
	v_subrev_co_ci_u32_e64 v5, null, 0, v5, s2
	v_cmp_le_u32_e32 vcc_lo, s8, v8
	v_cndmask_b32_e64 v7, 0, -1, vcc_lo
	s_delay_alu instid0(VALU_DEP_3)
	v_cmp_le_u32_e32 vcc_lo, s9, v5
	v_cndmask_b32_e64 v8, 0, -1, vcc_lo
	v_cmp_le_u32_e32 vcc_lo, s8, v6
	v_cndmask_b32_e64 v11, 0, -1, vcc_lo
	;; [unrolled: 2-line block ×3, first 2 shown]
	v_cmp_eq_u32_e32 vcc_lo, s9, v5
	v_cndmask_b32_e32 v5, v8, v7, vcc_lo
	v_cmp_eq_u32_e32 vcc_lo, s9, v10
	v_add_nc_u64_e32 v[6:7], 2, v[2:3]
	v_add_nc_u64_e32 v[8:9], 1, v[2:3]
	v_cndmask_b32_e32 v10, v12, v11, vcc_lo
	v_cmp_ne_u32_e32 vcc_lo, 0, v5
	s_delay_alu instid0(VALU_DEP_2) | instskip(NEXT) | instid1(VALU_DEP_4)
	v_cmp_ne_u32_e64 s2, 0, v10
	v_dual_cndmask_b32 v6, v8, v6 :: v_dual_cndmask_b32 v5, v9, v7
	s_delay_alu instid0(VALU_DEP_1) | instskip(NEXT) | instid1(VALU_DEP_1)
	v_dual_cndmask_b32 v2, v2, v6, s2 :: v_dual_cndmask_b32 v3, v3, v5, s2
	v_dual_mov_b32 v5, v4 :: v_dual_bitop2_b32 v2, v2, v4 bitop3:0x14
	s_delay_alu instid0(VALU_DEP_2) | instskip(NEXT) | instid1(VALU_DEP_1)
	v_xor_b32_e32 v3, v3, v4
	v_sub_nc_u64_e32 v[4:5], v[2:3], v[4:5]
.LBB1_3:
	s_and_not1_saveexec_b32 s2, s10
	s_cbranch_execz .LBB1_5
; %bb.4:
	v_cvt_f32_u32_e32 v2, s6
	s_sub_co_i32 s4, 0, s6
	s_delay_alu instid0(VALU_DEP_1) | instskip(SKIP_1) | instid1(TRANS32_DEP_1)
	v_rcp_iflag_f32_e32 v2, v2
	v_nop
	v_mul_f32_e32 v2, 0x4f7ffffe, v2
	s_delay_alu instid0(VALU_DEP_1) | instskip(NEXT) | instid1(VALU_DEP_1)
	v_cvt_u32_f32_e32 v2, v2
	v_mul_lo_u32 v3, s4, v2
	s_delay_alu instid0(VALU_DEP_1) | instskip(NEXT) | instid1(VALU_DEP_1)
	v_mul_hi_u32 v3, v2, v3
	v_add_nc_u32_e32 v2, v2, v3
	s_delay_alu instid0(VALU_DEP_1) | instskip(NEXT) | instid1(VALU_DEP_1)
	v_mul_hi_u32 v2, v0, v2
	v_mul_lo_u32 v3, v2, s6
	s_delay_alu instid0(VALU_DEP_1) | instskip(NEXT) | instid1(VALU_DEP_1)
	v_dual_add_nc_u32 v4, 1, v2 :: v_dual_sub_nc_u32 v3, v0, v3
	v_subrev_nc_u32_e32 v5, s6, v3
	v_cmp_le_u32_e32 vcc_lo, s6, v3
	s_delay_alu instid0(VALU_DEP_2) | instskip(NEXT) | instid1(VALU_DEP_4)
	v_dual_cndmask_b32 v3, v3, v5, vcc_lo :: v_dual_mov_b32 v5, 0
	v_cndmask_b32_e32 v2, v2, v4, vcc_lo
	s_delay_alu instid0(VALU_DEP_2) | instskip(NEXT) | instid1(VALU_DEP_2)
	v_cmp_le_u32_e32 vcc_lo, s6, v3
	v_add_nc_u32_e32 v4, 1, v2
	s_delay_alu instid0(VALU_DEP_1)
	v_cndmask_b32_e32 v4, v2, v4, vcc_lo
.LBB1_5:
	s_or_b32 exec_lo, exec_lo, s2
	s_delay_alu instid0(VALU_DEP_1)
	v_mul_u64_e32 v[2:3], s[6:7], v[4:5]
	s_load_b256 s[4:11], s[0:1], 0x70
	v_ashrrev_i32_e32 v5, 31, v4
	s_load_b128 s[12:15], s[0:1], 0x90
	s_bfe_u32 s2, ttmp6, 0x40014
	s_lshr_b32 s16, ttmp7, 16
	s_add_co_i32 s2, s2, 1
	s_bfe_u32 s17, ttmp6, 0x40008
	s_mul_i32 s2, s16, s2
	s_bfe_u32 s18, ttmp6, 0x40004
	s_add_co_i32 s17, s17, s2
	s_delay_alu instid0(VALU_DEP_2) | instskip(SKIP_3) | instid1(VALU_DEP_2)
	v_sub_nc_u64_e32 v[0:1], v[0:1], v[2:3]
	s_wait_kmcnt 0x0
	v_mul_u64_e32 v[2:3], s[8:9], v[4:5]
	s_load_b64 s[8:9], s[0:1], 0x48
	v_mul_u64_e32 v[6:7], s[10:11], v[0:1]
	s_bfe_u32 s10, ttmp6, 0x40010
	s_and_b32 s11, ttmp7, 0xffff
	s_add_co_i32 s10, s10, 1
	s_delay_alu instid0(SALU_CYCLE_1) | instskip(NEXT) | instid1(SALU_CYCLE_1)
	s_mul_i32 s10, s11, s10
	s_add_co_i32 s18, s18, s10
	s_cmp_eq_u32 s3, 0
	s_cselect_b32 s2, s16, s17
	s_cselect_b32 s3, s11, s18
	s_add_co_i32 s2, s15, s2
	s_add_co_i32 s14, s14, s3
	s_ashr_i32 s3, s2, 31
	s_ashr_i32 s15, s14, 31
	s_mul_u64 s[4:5], s[4:5], s[2:3]
	s_mul_u64 s[6:7], s[6:7], s[14:15]
	s_lshl_b64 s[4:5], s[4:5], 2
	s_load_b128 s[16:19], s[0:1], 0x38
	s_wait_kmcnt 0x0
	s_add_nc_u64 s[4:5], s[8:9], s[4:5]
	s_lshl_b64 s[6:7], s[6:7], 2
	s_delay_alu instid0(SALU_CYCLE_1)
	s_add_nc_u64 s[4:5], s[4:5], s[6:7]
	s_delay_alu instid0(VALU_DEP_2) | instid1(SALU_CYCLE_1)
	v_lshl_add_u64 v[2:3], v[2:3], 2, s[4:5]
	s_load_b256 s[4:11], s[0:1], 0x18
	s_wait_kmcnt 0x0
	s_sub_co_i32 s7, 0, s12
	s_sub_co_i32 s5, 0, s13
	s_max_i32 s7, s7, 0
	s_max_i32 s5, s5, 0
	s_delay_alu instid0(VALU_DEP_2)
	v_lshl_add_u64 v[2:3], v[6:7], 2, v[2:3]
	s_load_b64 s[0:1], s[0:1], 0x0
	global_load_b32 v5, v[2:3], off
	s_add_co_i32 s4, s12, s4
	s_add_co_i32 s6, s13, s6
	s_add_co_i32 s4, s4, -1
	s_add_co_i32 s6, s6, -1
	v_maxmin_i32 v1, s12, v4, s4
	s_max_i32 s4, s12, 0
	v_maxmin_i32 v0, s13, v0, s6
	s_sub_co_i32 s4, s7, s4
	s_mul_u64 s[2:3], s[8:9], s[2:3]
	s_wait_xcnt 0x0
	v_add_nc_u32_e32 v2, s4, v1
	s_max_i32 s4, s13, 0
	s_lshl_b64 s[2:3], s[2:3], 2
	s_sub_co_i32 s4, s5, s4
	s_wait_kmcnt 0x0
	s_add_nc_u64 s[0:1], s[0:1], s[2:3]
	v_dual_ashrrev_i32 v3, 31, v2 :: v_dual_add_nc_u32 v0, s4, v0
	s_mul_u64 s[4:5], s[10:11], s[14:15]
	s_delay_alu instid0(SALU_CYCLE_1) | instskip(NEXT) | instid1(VALU_DEP_1)
	s_lshl_b64 s[2:3], s[4:5], 2
	v_mul_u64_e32 v[2:3], s[16:17], v[2:3]
	s_delay_alu instid0(VALU_DEP_2) | instskip(SKIP_1) | instid1(VALU_DEP_1)
	v_ashrrev_i32_e32 v1, 31, v0
	s_add_nc_u64 s[0:1], s[0:1], s[2:3]
	v_mul_u64_e32 v[0:1], s[18:19], v[0:1]
	s_delay_alu instid0(VALU_DEP_3) | instskip(NEXT) | instid1(VALU_DEP_1)
	v_lshl_add_u64 v[2:3], v[2:3], 2, s[0:1]
	v_lshl_add_u64 v[0:1], v[0:1], 2, v[2:3]
	s_wait_loadcnt 0x0
	global_atomic_add_f32 v[0:1], v5, off scope:SCOPE_DEV
.LBB1_6:
	s_endpgm
	.section	.rodata,"a",@progbits
	.p2align	6, 0x0
	.amdhsa_kernel _ZN2at6native12_GLOBAL__N_131replication_pad_backward_kernelIfEEvN5torch10headeronly6detail27GenericPackedTensorAccessorINS5_14TensorAccessorIN3c108ArrayRefIlEET_Lm3ENS4_16DefaultPtrTraitsElEENS_6detail16IndexBoundsCheckILm4ElEESB_Lm4ESC_lEENS6_INS7_ISA_KSB_Lm3ESC_lEESG_SI_Lm4ESC_lEEiiii
		.amdhsa_group_segment_fixed_size 0
		.amdhsa_private_segment_fixed_size 0
		.amdhsa_kernarg_size 416
		.amdhsa_user_sgpr_count 2
		.amdhsa_user_sgpr_dispatch_ptr 0
		.amdhsa_user_sgpr_queue_ptr 0
		.amdhsa_user_sgpr_kernarg_segment_ptr 1
		.amdhsa_user_sgpr_dispatch_id 0
		.amdhsa_user_sgpr_kernarg_preload_length 0
		.amdhsa_user_sgpr_kernarg_preload_offset 0
		.amdhsa_user_sgpr_private_segment_size 0
		.amdhsa_wavefront_size32 1
		.amdhsa_uses_dynamic_stack 0
		.amdhsa_enable_private_segment 0
		.amdhsa_system_sgpr_workgroup_id_x 1
		.amdhsa_system_sgpr_workgroup_id_y 1
		.amdhsa_system_sgpr_workgroup_id_z 1
		.amdhsa_system_sgpr_workgroup_info 0
		.amdhsa_system_vgpr_workitem_id 0
		.amdhsa_next_free_vgpr 18
		.amdhsa_next_free_sgpr 22
		.amdhsa_named_barrier_count 0
		.amdhsa_reserve_vcc 1
		.amdhsa_float_round_mode_32 0
		.amdhsa_float_round_mode_16_64 0
		.amdhsa_float_denorm_mode_32 3
		.amdhsa_float_denorm_mode_16_64 3
		.amdhsa_fp16_overflow 0
		.amdhsa_memory_ordered 1
		.amdhsa_forward_progress 1
		.amdhsa_inst_pref_size 11
		.amdhsa_round_robin_scheduling 0
		.amdhsa_exception_fp_ieee_invalid_op 0
		.amdhsa_exception_fp_denorm_src 0
		.amdhsa_exception_fp_ieee_div_zero 0
		.amdhsa_exception_fp_ieee_overflow 0
		.amdhsa_exception_fp_ieee_underflow 0
		.amdhsa_exception_fp_ieee_inexact 0
		.amdhsa_exception_int_div_zero 0
	.end_amdhsa_kernel
	.section	.text._ZN2at6native12_GLOBAL__N_131replication_pad_backward_kernelIfEEvN5torch10headeronly6detail27GenericPackedTensorAccessorINS5_14TensorAccessorIN3c108ArrayRefIlEET_Lm3ENS4_16DefaultPtrTraitsElEENS_6detail16IndexBoundsCheckILm4ElEESB_Lm4ESC_lEENS6_INS7_ISA_KSB_Lm3ESC_lEESG_SI_Lm4ESC_lEEiiii,"axG",@progbits,_ZN2at6native12_GLOBAL__N_131replication_pad_backward_kernelIfEEvN5torch10headeronly6detail27GenericPackedTensorAccessorINS5_14TensorAccessorIN3c108ArrayRefIlEET_Lm3ENS4_16DefaultPtrTraitsElEENS_6detail16IndexBoundsCheckILm4ElEESB_Lm4ESC_lEENS6_INS7_ISA_KSB_Lm3ESC_lEESG_SI_Lm4ESC_lEEiiii,comdat
.Lfunc_end1:
	.size	_ZN2at6native12_GLOBAL__N_131replication_pad_backward_kernelIfEEvN5torch10headeronly6detail27GenericPackedTensorAccessorINS5_14TensorAccessorIN3c108ArrayRefIlEET_Lm3ENS4_16DefaultPtrTraitsElEENS_6detail16IndexBoundsCheckILm4ElEESB_Lm4ESC_lEENS6_INS7_ISA_KSB_Lm3ESC_lEESG_SI_Lm4ESC_lEEiiii, .Lfunc_end1-_ZN2at6native12_GLOBAL__N_131replication_pad_backward_kernelIfEEvN5torch10headeronly6detail27GenericPackedTensorAccessorINS5_14TensorAccessorIN3c108ArrayRefIlEET_Lm3ENS4_16DefaultPtrTraitsElEENS_6detail16IndexBoundsCheckILm4ElEESB_Lm4ESC_lEENS6_INS7_ISA_KSB_Lm3ESC_lEESG_SI_Lm4ESC_lEEiiii
                                        ; -- End function
	.set _ZN2at6native12_GLOBAL__N_131replication_pad_backward_kernelIfEEvN5torch10headeronly6detail27GenericPackedTensorAccessorINS5_14TensorAccessorIN3c108ArrayRefIlEET_Lm3ENS4_16DefaultPtrTraitsElEENS_6detail16IndexBoundsCheckILm4ElEESB_Lm4ESC_lEENS6_INS7_ISA_KSB_Lm3ESC_lEESG_SI_Lm4ESC_lEEiiii.num_vgpr, 18
	.set _ZN2at6native12_GLOBAL__N_131replication_pad_backward_kernelIfEEvN5torch10headeronly6detail27GenericPackedTensorAccessorINS5_14TensorAccessorIN3c108ArrayRefIlEET_Lm3ENS4_16DefaultPtrTraitsElEENS_6detail16IndexBoundsCheckILm4ElEESB_Lm4ESC_lEENS6_INS7_ISA_KSB_Lm3ESC_lEESG_SI_Lm4ESC_lEEiiii.num_agpr, 0
	.set _ZN2at6native12_GLOBAL__N_131replication_pad_backward_kernelIfEEvN5torch10headeronly6detail27GenericPackedTensorAccessorINS5_14TensorAccessorIN3c108ArrayRefIlEET_Lm3ENS4_16DefaultPtrTraitsElEENS_6detail16IndexBoundsCheckILm4ElEESB_Lm4ESC_lEENS6_INS7_ISA_KSB_Lm3ESC_lEESG_SI_Lm4ESC_lEEiiii.numbered_sgpr, 22
	.set _ZN2at6native12_GLOBAL__N_131replication_pad_backward_kernelIfEEvN5torch10headeronly6detail27GenericPackedTensorAccessorINS5_14TensorAccessorIN3c108ArrayRefIlEET_Lm3ENS4_16DefaultPtrTraitsElEENS_6detail16IndexBoundsCheckILm4ElEESB_Lm4ESC_lEENS6_INS7_ISA_KSB_Lm3ESC_lEESG_SI_Lm4ESC_lEEiiii.num_named_barrier, 0
	.set _ZN2at6native12_GLOBAL__N_131replication_pad_backward_kernelIfEEvN5torch10headeronly6detail27GenericPackedTensorAccessorINS5_14TensorAccessorIN3c108ArrayRefIlEET_Lm3ENS4_16DefaultPtrTraitsElEENS_6detail16IndexBoundsCheckILm4ElEESB_Lm4ESC_lEENS6_INS7_ISA_KSB_Lm3ESC_lEESG_SI_Lm4ESC_lEEiiii.private_seg_size, 0
	.set _ZN2at6native12_GLOBAL__N_131replication_pad_backward_kernelIfEEvN5torch10headeronly6detail27GenericPackedTensorAccessorINS5_14TensorAccessorIN3c108ArrayRefIlEET_Lm3ENS4_16DefaultPtrTraitsElEENS_6detail16IndexBoundsCheckILm4ElEESB_Lm4ESC_lEENS6_INS7_ISA_KSB_Lm3ESC_lEESG_SI_Lm4ESC_lEEiiii.uses_vcc, 1
	.set _ZN2at6native12_GLOBAL__N_131replication_pad_backward_kernelIfEEvN5torch10headeronly6detail27GenericPackedTensorAccessorINS5_14TensorAccessorIN3c108ArrayRefIlEET_Lm3ENS4_16DefaultPtrTraitsElEENS_6detail16IndexBoundsCheckILm4ElEESB_Lm4ESC_lEENS6_INS7_ISA_KSB_Lm3ESC_lEESG_SI_Lm4ESC_lEEiiii.uses_flat_scratch, 0
	.set _ZN2at6native12_GLOBAL__N_131replication_pad_backward_kernelIfEEvN5torch10headeronly6detail27GenericPackedTensorAccessorINS5_14TensorAccessorIN3c108ArrayRefIlEET_Lm3ENS4_16DefaultPtrTraitsElEENS_6detail16IndexBoundsCheckILm4ElEESB_Lm4ESC_lEENS6_INS7_ISA_KSB_Lm3ESC_lEESG_SI_Lm4ESC_lEEiiii.has_dyn_sized_stack, 0
	.set _ZN2at6native12_GLOBAL__N_131replication_pad_backward_kernelIfEEvN5torch10headeronly6detail27GenericPackedTensorAccessorINS5_14TensorAccessorIN3c108ArrayRefIlEET_Lm3ENS4_16DefaultPtrTraitsElEENS_6detail16IndexBoundsCheckILm4ElEESB_Lm4ESC_lEENS6_INS7_ISA_KSB_Lm3ESC_lEESG_SI_Lm4ESC_lEEiiii.has_recursion, 0
	.set _ZN2at6native12_GLOBAL__N_131replication_pad_backward_kernelIfEEvN5torch10headeronly6detail27GenericPackedTensorAccessorINS5_14TensorAccessorIN3c108ArrayRefIlEET_Lm3ENS4_16DefaultPtrTraitsElEENS_6detail16IndexBoundsCheckILm4ElEESB_Lm4ESC_lEENS6_INS7_ISA_KSB_Lm3ESC_lEESG_SI_Lm4ESC_lEEiiii.has_indirect_call, 0
	.section	.AMDGPU.csdata,"",@progbits
; Kernel info:
; codeLenInByte = 1292
; TotalNumSgprs: 24
; NumVgprs: 18
; ScratchSize: 0
; MemoryBound: 0
; FloatMode: 240
; IeeeMode: 1
; LDSByteSize: 0 bytes/workgroup (compile time only)
; SGPRBlocks: 0
; VGPRBlocks: 1
; NumSGPRsForWavesPerEU: 24
; NumVGPRsForWavesPerEU: 18
; NamedBarCnt: 0
; Occupancy: 16
; WaveLimiterHint : 1
; COMPUTE_PGM_RSRC2:SCRATCH_EN: 0
; COMPUTE_PGM_RSRC2:USER_SGPR: 2
; COMPUTE_PGM_RSRC2:TRAP_HANDLER: 0
; COMPUTE_PGM_RSRC2:TGID_X_EN: 1
; COMPUTE_PGM_RSRC2:TGID_Y_EN: 1
; COMPUTE_PGM_RSRC2:TGID_Z_EN: 1
; COMPUTE_PGM_RSRC2:TIDIG_COMP_CNT: 0
	.section	.text._ZN2at6native12_GLOBAL__N_131replication_pad_backward_kernelIN3c107complexIdEEEEvN5torch10headeronly6detail27GenericPackedTensorAccessorINS8_14TensorAccessorINS3_8ArrayRefIlEET_Lm3ENS7_16DefaultPtrTraitsElEENS_6detail16IndexBoundsCheckILm4ElEESD_Lm4ESE_lEENS9_INSA_ISC_KSD_Lm3ESE_lEESI_SK_Lm4ESE_lEEiiii,"axG",@progbits,_ZN2at6native12_GLOBAL__N_131replication_pad_backward_kernelIN3c107complexIdEEEEvN5torch10headeronly6detail27GenericPackedTensorAccessorINS8_14TensorAccessorINS3_8ArrayRefIlEET_Lm3ENS7_16DefaultPtrTraitsElEENS_6detail16IndexBoundsCheckILm4ElEESD_Lm4ESE_lEENS9_INSA_ISC_KSD_Lm3ESE_lEESI_SK_Lm4ESE_lEEiiii,comdat
	.globl	_ZN2at6native12_GLOBAL__N_131replication_pad_backward_kernelIN3c107complexIdEEEEvN5torch10headeronly6detail27GenericPackedTensorAccessorINS8_14TensorAccessorINS3_8ArrayRefIlEET_Lm3ENS7_16DefaultPtrTraitsElEENS_6detail16IndexBoundsCheckILm4ElEESD_Lm4ESE_lEENS9_INSA_ISC_KSD_Lm3ESE_lEESI_SK_Lm4ESE_lEEiiii ; -- Begin function _ZN2at6native12_GLOBAL__N_131replication_pad_backward_kernelIN3c107complexIdEEEEvN5torch10headeronly6detail27GenericPackedTensorAccessorINS8_14TensorAccessorINS3_8ArrayRefIlEET_Lm3ENS7_16DefaultPtrTraitsElEENS_6detail16IndexBoundsCheckILm4ElEESD_Lm4ESE_lEENS9_INSA_ISC_KSD_Lm3ESE_lEESI_SK_Lm4ESE_lEEiiii
	.p2align	8
	.type	_ZN2at6native12_GLOBAL__N_131replication_pad_backward_kernelIN3c107complexIdEEEEvN5torch10headeronly6detail27GenericPackedTensorAccessorINS8_14TensorAccessorINS3_8ArrayRefIlEET_Lm3ENS7_16DefaultPtrTraitsElEENS_6detail16IndexBoundsCheckILm4ElEESD_Lm4ESE_lEENS9_INSA_ISC_KSD_Lm3ESE_lEESI_SK_Lm4ESE_lEEiiii,@function
_ZN2at6native12_GLOBAL__N_131replication_pad_backward_kernelIN3c107complexIdEEEEvN5torch10headeronly6detail27GenericPackedTensorAccessorINS8_14TensorAccessorINS3_8ArrayRefIlEET_Lm3ENS7_16DefaultPtrTraitsElEENS_6detail16IndexBoundsCheckILm4ElEESD_Lm4ESE_lEENS9_INSA_ISC_KSD_Lm3ESE_lEESI_SK_Lm4ESE_lEEiiii: ; @_ZN2at6native12_GLOBAL__N_131replication_pad_backward_kernelIN3c107complexIdEEEEvN5torch10headeronly6detail27GenericPackedTensorAccessorINS8_14TensorAccessorINS3_8ArrayRefIlEET_Lm3ENS7_16DefaultPtrTraitsElEENS_6detail16IndexBoundsCheckILm4ElEESD_Lm4ESE_lEENS9_INSA_ISC_KSD_Lm3ESE_lEESI_SK_Lm4ESE_lEEiiii
; %bb.0:
	s_load_b32 s2, s[0:1], 0xac
	s_bfe_u32 s4, ttmp6, 0x4000c
	s_and_b32 s8, ttmp6, 15
	s_add_co_i32 s9, s4, 1
	s_getreg_b32 s3, hwreg(HW_REG_IB_STS2, 6, 4)
	s_mul_i32 s9, ttmp9, s9
	s_load_b128 s[4:7], s[0:1], 0x60
	s_add_co_i32 s8, s8, s9
	s_wait_kmcnt 0x0
	s_and_b32 s2, s2, 0xffff
	s_cmp_eq_u32 s3, 0
	s_cselect_b32 s8, ttmp9, s8
	s_delay_alu instid0(SALU_CYCLE_1) | instskip(SKIP_2) | instid1(VALU_DEP_1)
	v_mad_u32 v0, s8, s2, v0
	s_mul_u64 s[4:5], s[6:7], s[4:5]
	s_mov_b32 s2, exec_lo
	v_ashrrev_i32_e32 v1, 31, v0
	s_delay_alu instid0(VALU_DEP_1)
	v_cmpx_gt_i64_e64 s[4:5], v[0:1]
	s_cbranch_execz .LBB2_6
; %bb.1:
	v_dual_mov_b32 v2, 0 :: v_dual_bitop2_b32 v3, s7, v1 bitop3:0x54
                                        ; implicit-def: $vgpr4_vgpr5
	s_mov_b32 s2, exec_lo
	s_delay_alu instid0(VALU_DEP_1)
	v_cmpx_ne_u64_e32 0, v[2:3]
	s_xor_b32 s10, exec_lo, s2
	s_cbranch_execz .LBB2_3
; %bb.2:
	s_ashr_i32 s4, s7, 31
	s_mov_b32 s19, 0
	s_mov_b32 s5, s4
	v_dual_mov_b32 v9, v2 :: v_dual_ashrrev_i32 v4, 31, v1
	s_add_nc_u64 s[8:9], s[6:7], s[4:5]
	v_dual_mov_b32 v17, v2 :: v_dual_mov_b32 v3, v2
	s_xor_b64 s[8:9], s[8:9], s[4:5]
	s_delay_alu instid0(VALU_DEP_2) | instskip(SKIP_3) | instid1(VALU_DEP_1)
	v_mov_b32_e32 v5, v4
	s_cvt_f32_u32 s2, s8
	s_cvt_f32_u32 s5, s9
	s_sub_nc_u64 s[14:15], 0, s[8:9]
	v_add_nc_u64_e32 v[6:7], v[0:1], v[4:5]
	s_delay_alu instid0(SALU_CYCLE_1) | instskip(SKIP_1) | instid1(SALU_CYCLE_2)
	s_fmamk_f32 s2, s5, 0x4f800000, s2
	v_mov_b32_e32 v11, v2
	v_s_rcp_f32 s2, s2
	s_delay_alu instid0(VALU_DEP_2) | instskip(NEXT) | instid1(VALU_DEP_3)
	v_xor_b32_e32 v8, v6, v4
	v_xor_b32_e32 v10, v7, v4
	;; [unrolled: 1-line block ×3, first 2 shown]
	s_delay_alu instid0(TRANS32_DEP_1) | instskip(NEXT) | instid1(SALU_CYCLE_3)
	s_mul_f32 s2, s2, 0x5f7ffffc
	s_mul_f32 s5, s2, 0x2f800000
	s_delay_alu instid0(SALU_CYCLE_3) | instskip(NEXT) | instid1(SALU_CYCLE_3)
	s_trunc_f32 s5, s5
	s_fmamk_f32 s2, s5, 0xcf800000, s2
	s_cvt_u32_f32 s13, s5
	s_delay_alu instid0(SALU_CYCLE_2) | instskip(NEXT) | instid1(SALU_CYCLE_3)
	s_cvt_u32_f32 s12, s2
	s_mul_u64 s[16:17], s[14:15], s[12:13]
	s_delay_alu instid0(SALU_CYCLE_1)
	s_mul_hi_u32 s21, s12, s17
	s_mul_i32 s20, s12, s17
	s_mul_hi_u32 s18, s12, s16
	s_mul_i32 s5, s13, s16
	s_add_nc_u64 s[20:21], s[18:19], s[20:21]
	s_mul_hi_u32 s2, s13, s16
	s_mul_hi_u32 s11, s13, s17
	s_add_co_u32 s5, s20, s5
	s_add_co_ci_u32 s18, s21, s2
	s_mul_i32 s16, s13, s17
	s_add_co_ci_u32 s17, s11, 0
	s_delay_alu instid0(SALU_CYCLE_1) | instskip(NEXT) | instid1(SALU_CYCLE_1)
	s_add_nc_u64 s[16:17], s[18:19], s[16:17]
	s_add_co_u32 s12, s12, s16
	s_cselect_b32 s2, -1, 0
	s_delay_alu instid0(SALU_CYCLE_1) | instskip(SKIP_1) | instid1(SALU_CYCLE_1)
	s_cmp_lg_u32 s2, 0
	s_add_co_ci_u32 s13, s13, s17
	s_mul_u64 s[14:15], s[14:15], s[12:13]
	s_delay_alu instid0(SALU_CYCLE_1)
	s_mul_hi_u32 s17, s12, s15
	s_mul_i32 s16, s12, s15
	s_mul_hi_u32 s18, s12, s14
	s_mul_i32 s5, s13, s14
	s_add_nc_u64 s[16:17], s[18:19], s[16:17]
	s_mul_hi_u32 s2, s13, s14
	s_mul_hi_u32 s11, s13, s15
	s_add_co_u32 s5, s16, s5
	s_add_co_ci_u32 s18, s17, s2
	s_mul_i32 s14, s13, s15
	s_add_co_ci_u32 s15, s11, 0
	s_delay_alu instid0(SALU_CYCLE_1) | instskip(NEXT) | instid1(SALU_CYCLE_1)
	s_add_nc_u64 s[14:15], s[18:19], s[14:15]
	s_add_co_u32 s2, s12, s14
	s_cselect_b32 s5, -1, 0
	v_mul_hi_u32 v16, v8, s2
	s_cmp_lg_u32 s5, 0
	s_add_co_ci_u32 s18, s13, s15
	s_mov_b64 s[12:13], 0xffffffff
	v_mul_u64_e32 v[12:13], s[18:19], v[8:9]
	s_and_b64 s[12:13], s[2:3], s[12:13]
	v_mul_u64_e32 v[14:15], s[18:19], v[10:11]
	v_mul_u64_e32 v[6:7], s[12:13], v[10:11]
	s_delay_alu instid0(VALU_DEP_3) | instskip(NEXT) | instid1(VALU_DEP_1)
	v_add_nc_u64_e32 v[12:13], v[16:17], v[12:13]
	v_add_co_u32 v2, vcc_lo, v12, v6
	s_delay_alu instid0(VALU_DEP_2) | instskip(SKIP_1) | instid1(VALU_DEP_1)
	v_add_co_ci_u32_e32 v2, vcc_lo, v13, v7, vcc_lo
	v_add_co_ci_u32_e32 v15, vcc_lo, 0, v15, vcc_lo
	v_add_nc_u64_e32 v[2:3], v[2:3], v[14:15]
	s_delay_alu instid0(VALU_DEP_1) | instskip(NEXT) | instid1(VALU_DEP_1)
	v_mul_u64_e32 v[6:7], s[8:9], v[2:3]
	v_sub_nc_u32_e32 v5, v10, v7
	s_delay_alu instid0(VALU_DEP_2) | instskip(NEXT) | instid1(VALU_DEP_1)
	v_sub_co_u32 v6, vcc_lo, v8, v6
	v_sub_co_ci_u32_e64 v10, null, v10, v7, vcc_lo
	s_delay_alu instid0(VALU_DEP_3) | instskip(NEXT) | instid1(VALU_DEP_3)
	v_subrev_co_ci_u32_e64 v5, null, s9, v5, vcc_lo
	v_sub_co_u32 v8, s2, v6, s8
	s_delay_alu instid0(VALU_DEP_1) | instskip(NEXT) | instid1(VALU_DEP_2)
	v_subrev_co_ci_u32_e64 v5, null, 0, v5, s2
	v_cmp_le_u32_e32 vcc_lo, s8, v8
	v_cndmask_b32_e64 v7, 0, -1, vcc_lo
	s_delay_alu instid0(VALU_DEP_3)
	v_cmp_le_u32_e32 vcc_lo, s9, v5
	v_cndmask_b32_e64 v8, 0, -1, vcc_lo
	v_cmp_le_u32_e32 vcc_lo, s8, v6
	v_cndmask_b32_e64 v11, 0, -1, vcc_lo
	;; [unrolled: 2-line block ×3, first 2 shown]
	v_cmp_eq_u32_e32 vcc_lo, s9, v5
	v_cndmask_b32_e32 v5, v8, v7, vcc_lo
	v_cmp_eq_u32_e32 vcc_lo, s9, v10
	v_add_nc_u64_e32 v[6:7], 2, v[2:3]
	v_add_nc_u64_e32 v[8:9], 1, v[2:3]
	v_cndmask_b32_e32 v10, v12, v11, vcc_lo
	v_cmp_ne_u32_e32 vcc_lo, 0, v5
	s_delay_alu instid0(VALU_DEP_2) | instskip(NEXT) | instid1(VALU_DEP_4)
	v_cmp_ne_u32_e64 s2, 0, v10
	v_dual_cndmask_b32 v6, v8, v6 :: v_dual_cndmask_b32 v5, v9, v7
	s_delay_alu instid0(VALU_DEP_1) | instskip(NEXT) | instid1(VALU_DEP_1)
	v_dual_cndmask_b32 v2, v2, v6, s2 :: v_dual_cndmask_b32 v3, v3, v5, s2
	v_dual_mov_b32 v5, v4 :: v_dual_bitop2_b32 v2, v2, v4 bitop3:0x14
	s_delay_alu instid0(VALU_DEP_2) | instskip(NEXT) | instid1(VALU_DEP_1)
	v_xor_b32_e32 v3, v3, v4
	v_sub_nc_u64_e32 v[4:5], v[2:3], v[4:5]
.LBB2_3:
	s_and_not1_saveexec_b32 s2, s10
	s_cbranch_execz .LBB2_5
; %bb.4:
	v_cvt_f32_u32_e32 v2, s6
	s_sub_co_i32 s4, 0, s6
	s_delay_alu instid0(VALU_DEP_1) | instskip(SKIP_1) | instid1(TRANS32_DEP_1)
	v_rcp_iflag_f32_e32 v2, v2
	v_nop
	v_mul_f32_e32 v2, 0x4f7ffffe, v2
	s_delay_alu instid0(VALU_DEP_1) | instskip(NEXT) | instid1(VALU_DEP_1)
	v_cvt_u32_f32_e32 v2, v2
	v_mul_lo_u32 v3, s4, v2
	s_delay_alu instid0(VALU_DEP_1) | instskip(NEXT) | instid1(VALU_DEP_1)
	v_mul_hi_u32 v3, v2, v3
	v_add_nc_u32_e32 v2, v2, v3
	s_delay_alu instid0(VALU_DEP_1) | instskip(NEXT) | instid1(VALU_DEP_1)
	v_mul_hi_u32 v2, v0, v2
	v_mul_lo_u32 v3, v2, s6
	s_delay_alu instid0(VALU_DEP_1) | instskip(NEXT) | instid1(VALU_DEP_1)
	v_dual_add_nc_u32 v4, 1, v2 :: v_dual_sub_nc_u32 v3, v0, v3
	v_subrev_nc_u32_e32 v5, s6, v3
	v_cmp_le_u32_e32 vcc_lo, s6, v3
	s_delay_alu instid0(VALU_DEP_2) | instskip(NEXT) | instid1(VALU_DEP_4)
	v_dual_cndmask_b32 v3, v3, v5, vcc_lo :: v_dual_mov_b32 v5, 0
	v_cndmask_b32_e32 v2, v2, v4, vcc_lo
	s_delay_alu instid0(VALU_DEP_2) | instskip(NEXT) | instid1(VALU_DEP_2)
	v_cmp_le_u32_e32 vcc_lo, s6, v3
	v_add_nc_u32_e32 v4, 1, v2
	s_delay_alu instid0(VALU_DEP_1)
	v_cndmask_b32_e32 v4, v2, v4, vcc_lo
.LBB2_5:
	s_or_b32 exec_lo, exec_lo, s2
	s_delay_alu instid0(VALU_DEP_1)
	v_mul_u64_e32 v[2:3], s[6:7], v[4:5]
	s_load_b256 s[4:11], s[0:1], 0x70
	v_ashrrev_i32_e32 v5, 31, v4
	s_load_b128 s[12:15], s[0:1], 0x90
	s_bfe_u32 s2, ttmp6, 0x40014
	s_lshr_b32 s16, ttmp7, 16
	s_add_co_i32 s2, s2, 1
	s_bfe_u32 s17, ttmp6, 0x40008
	s_mul_i32 s2, s16, s2
	s_bfe_u32 s18, ttmp6, 0x40004
	s_add_co_i32 s17, s17, s2
	s_delay_alu instid0(VALU_DEP_2) | instskip(SKIP_3) | instid1(VALU_DEP_2)
	v_sub_nc_u64_e32 v[6:7], v[0:1], v[2:3]
	s_wait_kmcnt 0x0
	v_mul_u64_e32 v[0:1], s[8:9], v[4:5]
	s_load_b64 s[8:9], s[0:1], 0x48
	v_mul_u64_e32 v[2:3], s[10:11], v[6:7]
	s_bfe_u32 s10, ttmp6, 0x40010
	s_and_b32 s11, ttmp7, 0xffff
	s_add_co_i32 s10, s10, 1
	s_delay_alu instid0(SALU_CYCLE_1) | instskip(NEXT) | instid1(SALU_CYCLE_1)
	s_mul_i32 s10, s11, s10
	s_add_co_i32 s18, s18, s10
	s_cmp_eq_u32 s3, 0
	s_cselect_b32 s2, s16, s17
	s_cselect_b32 s3, s11, s18
	s_add_co_i32 s2, s15, s2
	s_add_co_i32 s14, s14, s3
	s_ashr_i32 s3, s2, 31
	s_ashr_i32 s15, s14, 31
	s_mul_u64 s[4:5], s[4:5], s[2:3]
	s_mul_u64 s[6:7], s[6:7], s[14:15]
	s_lshl_b64 s[4:5], s[4:5], 4
	s_load_b128 s[16:19], s[0:1], 0x38
	s_wait_kmcnt 0x0
	s_add_nc_u64 s[4:5], s[8:9], s[4:5]
	s_lshl_b64 s[6:7], s[6:7], 4
	s_delay_alu instid0(SALU_CYCLE_1)
	s_add_nc_u64 s[4:5], s[4:5], s[6:7]
	s_delay_alu instid0(VALU_DEP_2) | instid1(SALU_CYCLE_1)
	v_lshl_add_u64 v[0:1], v[0:1], 4, s[4:5]
	s_load_b256 s[4:11], s[0:1], 0x18
	s_wait_kmcnt 0x0
	s_sub_co_i32 s7, 0, s12
	s_sub_co_i32 s5, 0, s13
	s_max_i32 s7, s7, 0
	s_max_i32 s5, s5, 0
	s_delay_alu instid0(VALU_DEP_2)
	v_lshl_add_u64 v[0:1], v[2:3], 4, v[0:1]
	s_load_b64 s[0:1], s[0:1], 0x0
	global_load_b128 v[0:3], v[0:1], off
	s_add_co_i32 s4, s12, s4
	s_add_co_i32 s6, s13, s6
	s_add_co_i32 s4, s4, -1
	s_add_co_i32 s6, s6, -1
	v_maxmin_i32 v4, s12, v4, s4
	s_max_i32 s4, s12, 0
	v_maxmin_i32 v6, s13, v6, s6
	s_sub_co_i32 s4, s7, s4
	s_mul_u64 s[2:3], s[8:9], s[2:3]
	v_add_nc_u32_e32 v4, s4, v4
	s_max_i32 s4, s13, 0
	s_lshl_b64 s[2:3], s[2:3], 4
	s_sub_co_i32 s4, s5, s4
	s_wait_kmcnt 0x0
	s_add_nc_u64 s[0:1], s[0:1], s[2:3]
	v_dual_ashrrev_i32 v5, 31, v4 :: v_dual_add_nc_u32 v6, s4, v6
	s_mul_u64 s[4:5], s[10:11], s[14:15]
	s_delay_alu instid0(SALU_CYCLE_1) | instskip(NEXT) | instid1(VALU_DEP_1)
	s_lshl_b64 s[2:3], s[4:5], 4
	v_mul_u64_e32 v[4:5], s[16:17], v[4:5]
	s_delay_alu instid0(VALU_DEP_2) | instskip(SKIP_1) | instid1(VALU_DEP_1)
	v_ashrrev_i32_e32 v7, 31, v6
	s_add_nc_u64 s[0:1], s[0:1], s[2:3]
	v_mul_u64_e32 v[6:7], s[18:19], v[6:7]
	s_delay_alu instid0(VALU_DEP_3) | instskip(NEXT) | instid1(VALU_DEP_1)
	v_lshl_add_u64 v[4:5], v[4:5], 4, s[0:1]
	v_lshl_add_u64 v[4:5], v[6:7], 4, v[4:5]
	s_wait_xcnt 0x0
	s_wait_loadcnt 0x0
	global_atomic_add_f64 v[4:5], v[0:1], off scope:SCOPE_DEV
	s_wait_xcnt 0x0
	global_atomic_add_f64 v[4:5], v[2:3], off offset:8 scope:SCOPE_DEV
.LBB2_6:
	s_endpgm
	.section	.rodata,"a",@progbits
	.p2align	6, 0x0
	.amdhsa_kernel _ZN2at6native12_GLOBAL__N_131replication_pad_backward_kernelIN3c107complexIdEEEEvN5torch10headeronly6detail27GenericPackedTensorAccessorINS8_14TensorAccessorINS3_8ArrayRefIlEET_Lm3ENS7_16DefaultPtrTraitsElEENS_6detail16IndexBoundsCheckILm4ElEESD_Lm4ESE_lEENS9_INSA_ISC_KSD_Lm3ESE_lEESI_SK_Lm4ESE_lEEiiii
		.amdhsa_group_segment_fixed_size 0
		.amdhsa_private_segment_fixed_size 0
		.amdhsa_kernarg_size 416
		.amdhsa_user_sgpr_count 2
		.amdhsa_user_sgpr_dispatch_ptr 0
		.amdhsa_user_sgpr_queue_ptr 0
		.amdhsa_user_sgpr_kernarg_segment_ptr 1
		.amdhsa_user_sgpr_dispatch_id 0
		.amdhsa_user_sgpr_kernarg_preload_length 0
		.amdhsa_user_sgpr_kernarg_preload_offset 0
		.amdhsa_user_sgpr_private_segment_size 0
		.amdhsa_wavefront_size32 1
		.amdhsa_uses_dynamic_stack 0
		.amdhsa_enable_private_segment 0
		.amdhsa_system_sgpr_workgroup_id_x 1
		.amdhsa_system_sgpr_workgroup_id_y 1
		.amdhsa_system_sgpr_workgroup_id_z 1
		.amdhsa_system_sgpr_workgroup_info 0
		.amdhsa_system_vgpr_workitem_id 0
		.amdhsa_next_free_vgpr 18
		.amdhsa_next_free_sgpr 22
		.amdhsa_named_barrier_count 0
		.amdhsa_reserve_vcc 1
		.amdhsa_float_round_mode_32 0
		.amdhsa_float_round_mode_16_64 0
		.amdhsa_float_denorm_mode_32 3
		.amdhsa_float_denorm_mode_16_64 3
		.amdhsa_fp16_overflow 0
		.amdhsa_memory_ordered 1
		.amdhsa_forward_progress 1
		.amdhsa_inst_pref_size 11
		.amdhsa_round_robin_scheduling 0
		.amdhsa_exception_fp_ieee_invalid_op 0
		.amdhsa_exception_fp_denorm_src 0
		.amdhsa_exception_fp_ieee_div_zero 0
		.amdhsa_exception_fp_ieee_overflow 0
		.amdhsa_exception_fp_ieee_underflow 0
		.amdhsa_exception_fp_ieee_inexact 0
		.amdhsa_exception_int_div_zero 0
	.end_amdhsa_kernel
	.section	.text._ZN2at6native12_GLOBAL__N_131replication_pad_backward_kernelIN3c107complexIdEEEEvN5torch10headeronly6detail27GenericPackedTensorAccessorINS8_14TensorAccessorINS3_8ArrayRefIlEET_Lm3ENS7_16DefaultPtrTraitsElEENS_6detail16IndexBoundsCheckILm4ElEESD_Lm4ESE_lEENS9_INSA_ISC_KSD_Lm3ESE_lEESI_SK_Lm4ESE_lEEiiii,"axG",@progbits,_ZN2at6native12_GLOBAL__N_131replication_pad_backward_kernelIN3c107complexIdEEEEvN5torch10headeronly6detail27GenericPackedTensorAccessorINS8_14TensorAccessorINS3_8ArrayRefIlEET_Lm3ENS7_16DefaultPtrTraitsElEENS_6detail16IndexBoundsCheckILm4ElEESD_Lm4ESE_lEENS9_INSA_ISC_KSD_Lm3ESE_lEESI_SK_Lm4ESE_lEEiiii,comdat
.Lfunc_end2:
	.size	_ZN2at6native12_GLOBAL__N_131replication_pad_backward_kernelIN3c107complexIdEEEEvN5torch10headeronly6detail27GenericPackedTensorAccessorINS8_14TensorAccessorINS3_8ArrayRefIlEET_Lm3ENS7_16DefaultPtrTraitsElEENS_6detail16IndexBoundsCheckILm4ElEESD_Lm4ESE_lEENS9_INSA_ISC_KSD_Lm3ESE_lEESI_SK_Lm4ESE_lEEiiii, .Lfunc_end2-_ZN2at6native12_GLOBAL__N_131replication_pad_backward_kernelIN3c107complexIdEEEEvN5torch10headeronly6detail27GenericPackedTensorAccessorINS8_14TensorAccessorINS3_8ArrayRefIlEET_Lm3ENS7_16DefaultPtrTraitsElEENS_6detail16IndexBoundsCheckILm4ElEESD_Lm4ESE_lEENS9_INSA_ISC_KSD_Lm3ESE_lEESI_SK_Lm4ESE_lEEiiii
                                        ; -- End function
	.set _ZN2at6native12_GLOBAL__N_131replication_pad_backward_kernelIN3c107complexIdEEEEvN5torch10headeronly6detail27GenericPackedTensorAccessorINS8_14TensorAccessorINS3_8ArrayRefIlEET_Lm3ENS7_16DefaultPtrTraitsElEENS_6detail16IndexBoundsCheckILm4ElEESD_Lm4ESE_lEENS9_INSA_ISC_KSD_Lm3ESE_lEESI_SK_Lm4ESE_lEEiiii.num_vgpr, 18
	.set _ZN2at6native12_GLOBAL__N_131replication_pad_backward_kernelIN3c107complexIdEEEEvN5torch10headeronly6detail27GenericPackedTensorAccessorINS8_14TensorAccessorINS3_8ArrayRefIlEET_Lm3ENS7_16DefaultPtrTraitsElEENS_6detail16IndexBoundsCheckILm4ElEESD_Lm4ESE_lEENS9_INSA_ISC_KSD_Lm3ESE_lEESI_SK_Lm4ESE_lEEiiii.num_agpr, 0
	.set _ZN2at6native12_GLOBAL__N_131replication_pad_backward_kernelIN3c107complexIdEEEEvN5torch10headeronly6detail27GenericPackedTensorAccessorINS8_14TensorAccessorINS3_8ArrayRefIlEET_Lm3ENS7_16DefaultPtrTraitsElEENS_6detail16IndexBoundsCheckILm4ElEESD_Lm4ESE_lEENS9_INSA_ISC_KSD_Lm3ESE_lEESI_SK_Lm4ESE_lEEiiii.numbered_sgpr, 22
	.set _ZN2at6native12_GLOBAL__N_131replication_pad_backward_kernelIN3c107complexIdEEEEvN5torch10headeronly6detail27GenericPackedTensorAccessorINS8_14TensorAccessorINS3_8ArrayRefIlEET_Lm3ENS7_16DefaultPtrTraitsElEENS_6detail16IndexBoundsCheckILm4ElEESD_Lm4ESE_lEENS9_INSA_ISC_KSD_Lm3ESE_lEESI_SK_Lm4ESE_lEEiiii.num_named_barrier, 0
	.set _ZN2at6native12_GLOBAL__N_131replication_pad_backward_kernelIN3c107complexIdEEEEvN5torch10headeronly6detail27GenericPackedTensorAccessorINS8_14TensorAccessorINS3_8ArrayRefIlEET_Lm3ENS7_16DefaultPtrTraitsElEENS_6detail16IndexBoundsCheckILm4ElEESD_Lm4ESE_lEENS9_INSA_ISC_KSD_Lm3ESE_lEESI_SK_Lm4ESE_lEEiiii.private_seg_size, 0
	.set _ZN2at6native12_GLOBAL__N_131replication_pad_backward_kernelIN3c107complexIdEEEEvN5torch10headeronly6detail27GenericPackedTensorAccessorINS8_14TensorAccessorINS3_8ArrayRefIlEET_Lm3ENS7_16DefaultPtrTraitsElEENS_6detail16IndexBoundsCheckILm4ElEESD_Lm4ESE_lEENS9_INSA_ISC_KSD_Lm3ESE_lEESI_SK_Lm4ESE_lEEiiii.uses_vcc, 1
	.set _ZN2at6native12_GLOBAL__N_131replication_pad_backward_kernelIN3c107complexIdEEEEvN5torch10headeronly6detail27GenericPackedTensorAccessorINS8_14TensorAccessorINS3_8ArrayRefIlEET_Lm3ENS7_16DefaultPtrTraitsElEENS_6detail16IndexBoundsCheckILm4ElEESD_Lm4ESE_lEENS9_INSA_ISC_KSD_Lm3ESE_lEESI_SK_Lm4ESE_lEEiiii.uses_flat_scratch, 0
	.set _ZN2at6native12_GLOBAL__N_131replication_pad_backward_kernelIN3c107complexIdEEEEvN5torch10headeronly6detail27GenericPackedTensorAccessorINS8_14TensorAccessorINS3_8ArrayRefIlEET_Lm3ENS7_16DefaultPtrTraitsElEENS_6detail16IndexBoundsCheckILm4ElEESD_Lm4ESE_lEENS9_INSA_ISC_KSD_Lm3ESE_lEESI_SK_Lm4ESE_lEEiiii.has_dyn_sized_stack, 0
	.set _ZN2at6native12_GLOBAL__N_131replication_pad_backward_kernelIN3c107complexIdEEEEvN5torch10headeronly6detail27GenericPackedTensorAccessorINS8_14TensorAccessorINS3_8ArrayRefIlEET_Lm3ENS7_16DefaultPtrTraitsElEENS_6detail16IndexBoundsCheckILm4ElEESD_Lm4ESE_lEENS9_INSA_ISC_KSD_Lm3ESE_lEESI_SK_Lm4ESE_lEEiiii.has_recursion, 0
	.set _ZN2at6native12_GLOBAL__N_131replication_pad_backward_kernelIN3c107complexIdEEEEvN5torch10headeronly6detail27GenericPackedTensorAccessorINS8_14TensorAccessorINS3_8ArrayRefIlEET_Lm3ENS7_16DefaultPtrTraitsElEENS_6detail16IndexBoundsCheckILm4ElEESD_Lm4ESE_lEENS9_INSA_ISC_KSD_Lm3ESE_lEESI_SK_Lm4ESE_lEEiiii.has_indirect_call, 0
	.section	.AMDGPU.csdata,"",@progbits
; Kernel info:
; codeLenInByte = 1308
; TotalNumSgprs: 24
; NumVgprs: 18
; ScratchSize: 0
; MemoryBound: 0
; FloatMode: 240
; IeeeMode: 1
; LDSByteSize: 0 bytes/workgroup (compile time only)
; SGPRBlocks: 0
; VGPRBlocks: 1
; NumSGPRsForWavesPerEU: 24
; NumVGPRsForWavesPerEU: 18
; NamedBarCnt: 0
; Occupancy: 16
; WaveLimiterHint : 1
; COMPUTE_PGM_RSRC2:SCRATCH_EN: 0
; COMPUTE_PGM_RSRC2:USER_SGPR: 2
; COMPUTE_PGM_RSRC2:TRAP_HANDLER: 0
; COMPUTE_PGM_RSRC2:TGID_X_EN: 1
; COMPUTE_PGM_RSRC2:TGID_Y_EN: 1
; COMPUTE_PGM_RSRC2:TGID_Z_EN: 1
; COMPUTE_PGM_RSRC2:TIDIG_COMP_CNT: 0
	.section	.text._ZN2at6native12_GLOBAL__N_131replication_pad_backward_kernelIN3c107complexIfEEEEvN5torch10headeronly6detail27GenericPackedTensorAccessorINS8_14TensorAccessorINS3_8ArrayRefIlEET_Lm3ENS7_16DefaultPtrTraitsElEENS_6detail16IndexBoundsCheckILm4ElEESD_Lm4ESE_lEENS9_INSA_ISC_KSD_Lm3ESE_lEESI_SK_Lm4ESE_lEEiiii,"axG",@progbits,_ZN2at6native12_GLOBAL__N_131replication_pad_backward_kernelIN3c107complexIfEEEEvN5torch10headeronly6detail27GenericPackedTensorAccessorINS8_14TensorAccessorINS3_8ArrayRefIlEET_Lm3ENS7_16DefaultPtrTraitsElEENS_6detail16IndexBoundsCheckILm4ElEESD_Lm4ESE_lEENS9_INSA_ISC_KSD_Lm3ESE_lEESI_SK_Lm4ESE_lEEiiii,comdat
	.globl	_ZN2at6native12_GLOBAL__N_131replication_pad_backward_kernelIN3c107complexIfEEEEvN5torch10headeronly6detail27GenericPackedTensorAccessorINS8_14TensorAccessorINS3_8ArrayRefIlEET_Lm3ENS7_16DefaultPtrTraitsElEENS_6detail16IndexBoundsCheckILm4ElEESD_Lm4ESE_lEENS9_INSA_ISC_KSD_Lm3ESE_lEESI_SK_Lm4ESE_lEEiiii ; -- Begin function _ZN2at6native12_GLOBAL__N_131replication_pad_backward_kernelIN3c107complexIfEEEEvN5torch10headeronly6detail27GenericPackedTensorAccessorINS8_14TensorAccessorINS3_8ArrayRefIlEET_Lm3ENS7_16DefaultPtrTraitsElEENS_6detail16IndexBoundsCheckILm4ElEESD_Lm4ESE_lEENS9_INSA_ISC_KSD_Lm3ESE_lEESI_SK_Lm4ESE_lEEiiii
	.p2align	8
	.type	_ZN2at6native12_GLOBAL__N_131replication_pad_backward_kernelIN3c107complexIfEEEEvN5torch10headeronly6detail27GenericPackedTensorAccessorINS8_14TensorAccessorINS3_8ArrayRefIlEET_Lm3ENS7_16DefaultPtrTraitsElEENS_6detail16IndexBoundsCheckILm4ElEESD_Lm4ESE_lEENS9_INSA_ISC_KSD_Lm3ESE_lEESI_SK_Lm4ESE_lEEiiii,@function
_ZN2at6native12_GLOBAL__N_131replication_pad_backward_kernelIN3c107complexIfEEEEvN5torch10headeronly6detail27GenericPackedTensorAccessorINS8_14TensorAccessorINS3_8ArrayRefIlEET_Lm3ENS7_16DefaultPtrTraitsElEENS_6detail16IndexBoundsCheckILm4ElEESD_Lm4ESE_lEENS9_INSA_ISC_KSD_Lm3ESE_lEESI_SK_Lm4ESE_lEEiiii: ; @_ZN2at6native12_GLOBAL__N_131replication_pad_backward_kernelIN3c107complexIfEEEEvN5torch10headeronly6detail27GenericPackedTensorAccessorINS8_14TensorAccessorINS3_8ArrayRefIlEET_Lm3ENS7_16DefaultPtrTraitsElEENS_6detail16IndexBoundsCheckILm4ElEESD_Lm4ESE_lEENS9_INSA_ISC_KSD_Lm3ESE_lEESI_SK_Lm4ESE_lEEiiii
; %bb.0:
	s_load_b32 s2, s[0:1], 0xac
	s_bfe_u32 s4, ttmp6, 0x4000c
	s_and_b32 s8, ttmp6, 15
	s_add_co_i32 s9, s4, 1
	s_getreg_b32 s3, hwreg(HW_REG_IB_STS2, 6, 4)
	s_mul_i32 s9, ttmp9, s9
	s_load_b128 s[4:7], s[0:1], 0x60
	s_add_co_i32 s8, s8, s9
	s_wait_kmcnt 0x0
	s_and_b32 s2, s2, 0xffff
	s_cmp_eq_u32 s3, 0
	s_cselect_b32 s8, ttmp9, s8
	s_delay_alu instid0(SALU_CYCLE_1) | instskip(SKIP_2) | instid1(VALU_DEP_1)
	v_mad_u32 v0, s8, s2, v0
	s_mul_u64 s[4:5], s[6:7], s[4:5]
	s_mov_b32 s2, exec_lo
	v_ashrrev_i32_e32 v1, 31, v0
	s_delay_alu instid0(VALU_DEP_1)
	v_cmpx_gt_i64_e64 s[4:5], v[0:1]
	s_cbranch_execz .LBB3_6
; %bb.1:
	v_dual_mov_b32 v2, 0 :: v_dual_bitop2_b32 v3, s7, v1 bitop3:0x54
                                        ; implicit-def: $vgpr4_vgpr5
	s_mov_b32 s2, exec_lo
	s_delay_alu instid0(VALU_DEP_1)
	v_cmpx_ne_u64_e32 0, v[2:3]
	s_xor_b32 s10, exec_lo, s2
	s_cbranch_execz .LBB3_3
; %bb.2:
	s_ashr_i32 s4, s7, 31
	s_mov_b32 s19, 0
	s_mov_b32 s5, s4
	v_dual_mov_b32 v9, v2 :: v_dual_ashrrev_i32 v4, 31, v1
	s_add_nc_u64 s[8:9], s[6:7], s[4:5]
	v_dual_mov_b32 v17, v2 :: v_dual_mov_b32 v3, v2
	s_xor_b64 s[8:9], s[8:9], s[4:5]
	s_delay_alu instid0(VALU_DEP_2) | instskip(SKIP_3) | instid1(VALU_DEP_1)
	v_mov_b32_e32 v5, v4
	s_cvt_f32_u32 s2, s8
	s_cvt_f32_u32 s5, s9
	s_sub_nc_u64 s[14:15], 0, s[8:9]
	v_add_nc_u64_e32 v[6:7], v[0:1], v[4:5]
	s_delay_alu instid0(SALU_CYCLE_1) | instskip(SKIP_1) | instid1(SALU_CYCLE_2)
	s_fmamk_f32 s2, s5, 0x4f800000, s2
	v_mov_b32_e32 v11, v2
	v_s_rcp_f32 s2, s2
	s_delay_alu instid0(VALU_DEP_2) | instskip(NEXT) | instid1(VALU_DEP_3)
	v_xor_b32_e32 v8, v6, v4
	v_xor_b32_e32 v10, v7, v4
	;; [unrolled: 1-line block ×3, first 2 shown]
	s_delay_alu instid0(TRANS32_DEP_1) | instskip(NEXT) | instid1(SALU_CYCLE_3)
	s_mul_f32 s2, s2, 0x5f7ffffc
	s_mul_f32 s5, s2, 0x2f800000
	s_delay_alu instid0(SALU_CYCLE_3) | instskip(NEXT) | instid1(SALU_CYCLE_3)
	s_trunc_f32 s5, s5
	s_fmamk_f32 s2, s5, 0xcf800000, s2
	s_cvt_u32_f32 s13, s5
	s_delay_alu instid0(SALU_CYCLE_2) | instskip(NEXT) | instid1(SALU_CYCLE_3)
	s_cvt_u32_f32 s12, s2
	s_mul_u64 s[16:17], s[14:15], s[12:13]
	s_delay_alu instid0(SALU_CYCLE_1)
	s_mul_hi_u32 s21, s12, s17
	s_mul_i32 s20, s12, s17
	s_mul_hi_u32 s18, s12, s16
	s_mul_i32 s5, s13, s16
	s_add_nc_u64 s[20:21], s[18:19], s[20:21]
	s_mul_hi_u32 s2, s13, s16
	s_mul_hi_u32 s11, s13, s17
	s_add_co_u32 s5, s20, s5
	s_add_co_ci_u32 s18, s21, s2
	s_mul_i32 s16, s13, s17
	s_add_co_ci_u32 s17, s11, 0
	s_delay_alu instid0(SALU_CYCLE_1) | instskip(NEXT) | instid1(SALU_CYCLE_1)
	s_add_nc_u64 s[16:17], s[18:19], s[16:17]
	s_add_co_u32 s12, s12, s16
	s_cselect_b32 s2, -1, 0
	s_delay_alu instid0(SALU_CYCLE_1) | instskip(SKIP_1) | instid1(SALU_CYCLE_1)
	s_cmp_lg_u32 s2, 0
	s_add_co_ci_u32 s13, s13, s17
	s_mul_u64 s[14:15], s[14:15], s[12:13]
	s_delay_alu instid0(SALU_CYCLE_1)
	s_mul_hi_u32 s17, s12, s15
	s_mul_i32 s16, s12, s15
	s_mul_hi_u32 s18, s12, s14
	s_mul_i32 s5, s13, s14
	s_add_nc_u64 s[16:17], s[18:19], s[16:17]
	s_mul_hi_u32 s2, s13, s14
	s_mul_hi_u32 s11, s13, s15
	s_add_co_u32 s5, s16, s5
	s_add_co_ci_u32 s18, s17, s2
	s_mul_i32 s14, s13, s15
	s_add_co_ci_u32 s15, s11, 0
	s_delay_alu instid0(SALU_CYCLE_1) | instskip(NEXT) | instid1(SALU_CYCLE_1)
	s_add_nc_u64 s[14:15], s[18:19], s[14:15]
	s_add_co_u32 s2, s12, s14
	s_cselect_b32 s5, -1, 0
	v_mul_hi_u32 v16, v8, s2
	s_cmp_lg_u32 s5, 0
	s_add_co_ci_u32 s18, s13, s15
	s_mov_b64 s[12:13], 0xffffffff
	v_mul_u64_e32 v[12:13], s[18:19], v[8:9]
	s_and_b64 s[12:13], s[2:3], s[12:13]
	v_mul_u64_e32 v[14:15], s[18:19], v[10:11]
	v_mul_u64_e32 v[6:7], s[12:13], v[10:11]
	s_delay_alu instid0(VALU_DEP_3) | instskip(NEXT) | instid1(VALU_DEP_1)
	v_add_nc_u64_e32 v[12:13], v[16:17], v[12:13]
	v_add_co_u32 v2, vcc_lo, v12, v6
	s_delay_alu instid0(VALU_DEP_2) | instskip(SKIP_1) | instid1(VALU_DEP_1)
	v_add_co_ci_u32_e32 v2, vcc_lo, v13, v7, vcc_lo
	v_add_co_ci_u32_e32 v15, vcc_lo, 0, v15, vcc_lo
	v_add_nc_u64_e32 v[2:3], v[2:3], v[14:15]
	s_delay_alu instid0(VALU_DEP_1) | instskip(NEXT) | instid1(VALU_DEP_1)
	v_mul_u64_e32 v[6:7], s[8:9], v[2:3]
	v_sub_nc_u32_e32 v5, v10, v7
	s_delay_alu instid0(VALU_DEP_2) | instskip(NEXT) | instid1(VALU_DEP_1)
	v_sub_co_u32 v6, vcc_lo, v8, v6
	v_sub_co_ci_u32_e64 v10, null, v10, v7, vcc_lo
	s_delay_alu instid0(VALU_DEP_3) | instskip(NEXT) | instid1(VALU_DEP_3)
	v_subrev_co_ci_u32_e64 v5, null, s9, v5, vcc_lo
	v_sub_co_u32 v8, s2, v6, s8
	s_delay_alu instid0(VALU_DEP_1) | instskip(NEXT) | instid1(VALU_DEP_2)
	v_subrev_co_ci_u32_e64 v5, null, 0, v5, s2
	v_cmp_le_u32_e32 vcc_lo, s8, v8
	v_cndmask_b32_e64 v7, 0, -1, vcc_lo
	s_delay_alu instid0(VALU_DEP_3)
	v_cmp_le_u32_e32 vcc_lo, s9, v5
	v_cndmask_b32_e64 v8, 0, -1, vcc_lo
	v_cmp_le_u32_e32 vcc_lo, s8, v6
	v_cndmask_b32_e64 v11, 0, -1, vcc_lo
	;; [unrolled: 2-line block ×3, first 2 shown]
	v_cmp_eq_u32_e32 vcc_lo, s9, v5
	v_cndmask_b32_e32 v5, v8, v7, vcc_lo
	v_cmp_eq_u32_e32 vcc_lo, s9, v10
	v_add_nc_u64_e32 v[6:7], 2, v[2:3]
	v_add_nc_u64_e32 v[8:9], 1, v[2:3]
	v_cndmask_b32_e32 v10, v12, v11, vcc_lo
	v_cmp_ne_u32_e32 vcc_lo, 0, v5
	s_delay_alu instid0(VALU_DEP_2) | instskip(NEXT) | instid1(VALU_DEP_4)
	v_cmp_ne_u32_e64 s2, 0, v10
	v_dual_cndmask_b32 v6, v8, v6 :: v_dual_cndmask_b32 v5, v9, v7
	s_delay_alu instid0(VALU_DEP_1) | instskip(NEXT) | instid1(VALU_DEP_1)
	v_dual_cndmask_b32 v2, v2, v6, s2 :: v_dual_cndmask_b32 v3, v3, v5, s2
	v_dual_mov_b32 v5, v4 :: v_dual_bitop2_b32 v2, v2, v4 bitop3:0x14
	s_delay_alu instid0(VALU_DEP_2) | instskip(NEXT) | instid1(VALU_DEP_1)
	v_xor_b32_e32 v3, v3, v4
	v_sub_nc_u64_e32 v[4:5], v[2:3], v[4:5]
.LBB3_3:
	s_and_not1_saveexec_b32 s2, s10
	s_cbranch_execz .LBB3_5
; %bb.4:
	v_cvt_f32_u32_e32 v2, s6
	s_sub_co_i32 s4, 0, s6
	s_delay_alu instid0(VALU_DEP_1) | instskip(SKIP_1) | instid1(TRANS32_DEP_1)
	v_rcp_iflag_f32_e32 v2, v2
	v_nop
	v_mul_f32_e32 v2, 0x4f7ffffe, v2
	s_delay_alu instid0(VALU_DEP_1) | instskip(NEXT) | instid1(VALU_DEP_1)
	v_cvt_u32_f32_e32 v2, v2
	v_mul_lo_u32 v3, s4, v2
	s_delay_alu instid0(VALU_DEP_1) | instskip(NEXT) | instid1(VALU_DEP_1)
	v_mul_hi_u32 v3, v2, v3
	v_add_nc_u32_e32 v2, v2, v3
	s_delay_alu instid0(VALU_DEP_1) | instskip(NEXT) | instid1(VALU_DEP_1)
	v_mul_hi_u32 v2, v0, v2
	v_mul_lo_u32 v3, v2, s6
	s_delay_alu instid0(VALU_DEP_1) | instskip(NEXT) | instid1(VALU_DEP_1)
	v_dual_add_nc_u32 v4, 1, v2 :: v_dual_sub_nc_u32 v3, v0, v3
	v_subrev_nc_u32_e32 v5, s6, v3
	v_cmp_le_u32_e32 vcc_lo, s6, v3
	s_delay_alu instid0(VALU_DEP_2) | instskip(NEXT) | instid1(VALU_DEP_4)
	v_dual_cndmask_b32 v3, v3, v5, vcc_lo :: v_dual_mov_b32 v5, 0
	v_cndmask_b32_e32 v2, v2, v4, vcc_lo
	s_delay_alu instid0(VALU_DEP_2) | instskip(NEXT) | instid1(VALU_DEP_2)
	v_cmp_le_u32_e32 vcc_lo, s6, v3
	v_add_nc_u32_e32 v4, 1, v2
	s_delay_alu instid0(VALU_DEP_1)
	v_cndmask_b32_e32 v4, v2, v4, vcc_lo
.LBB3_5:
	s_or_b32 exec_lo, exec_lo, s2
	s_delay_alu instid0(VALU_DEP_1)
	v_mul_u64_e32 v[2:3], s[6:7], v[4:5]
	s_load_b256 s[4:11], s[0:1], 0x70
	v_ashrrev_i32_e32 v5, 31, v4
	s_load_b128 s[12:15], s[0:1], 0x90
	s_bfe_u32 s2, ttmp6, 0x40014
	s_lshr_b32 s16, ttmp7, 16
	s_add_co_i32 s2, s2, 1
	s_bfe_u32 s17, ttmp6, 0x40008
	s_mul_i32 s2, s16, s2
	s_bfe_u32 s18, ttmp6, 0x40004
	s_add_co_i32 s17, s17, s2
	s_delay_alu instid0(VALU_DEP_2) | instskip(SKIP_3) | instid1(VALU_DEP_2)
	v_sub_nc_u64_e32 v[0:1], v[0:1], v[2:3]
	s_wait_kmcnt 0x0
	v_mul_u64_e32 v[2:3], s[8:9], v[4:5]
	s_load_b64 s[8:9], s[0:1], 0x48
	v_mul_u64_e32 v[6:7], s[10:11], v[0:1]
	s_bfe_u32 s10, ttmp6, 0x40010
	s_and_b32 s11, ttmp7, 0xffff
	s_add_co_i32 s10, s10, 1
	s_delay_alu instid0(SALU_CYCLE_1) | instskip(NEXT) | instid1(SALU_CYCLE_1)
	s_mul_i32 s10, s11, s10
	s_add_co_i32 s18, s18, s10
	s_cmp_eq_u32 s3, 0
	s_cselect_b32 s2, s16, s17
	s_cselect_b32 s3, s11, s18
	s_add_co_i32 s2, s15, s2
	s_add_co_i32 s14, s14, s3
	s_ashr_i32 s3, s2, 31
	s_ashr_i32 s15, s14, 31
	s_mul_u64 s[4:5], s[4:5], s[2:3]
	s_mul_u64 s[6:7], s[6:7], s[14:15]
	s_lshl_b64 s[4:5], s[4:5], 3
	s_load_b128 s[16:19], s[0:1], 0x38
	s_wait_kmcnt 0x0
	s_add_nc_u64 s[4:5], s[8:9], s[4:5]
	s_lshl_b64 s[6:7], s[6:7], 3
	s_delay_alu instid0(SALU_CYCLE_1)
	s_add_nc_u64 s[4:5], s[4:5], s[6:7]
	s_delay_alu instid0(VALU_DEP_2) | instid1(SALU_CYCLE_1)
	v_lshl_add_u64 v[2:3], v[2:3], 3, s[4:5]
	s_load_b256 s[4:11], s[0:1], 0x18
	s_wait_kmcnt 0x0
	s_sub_co_i32 s7, 0, s12
	s_sub_co_i32 s5, 0, s13
	s_max_i32 s7, s7, 0
	s_max_i32 s5, s5, 0
	s_delay_alu instid0(VALU_DEP_2)
	v_lshl_add_u64 v[2:3], v[6:7], 3, v[2:3]
	s_load_b64 s[0:1], s[0:1], 0x0
	global_load_b64 v[2:3], v[2:3], off
	s_add_co_i32 s4, s12, s4
	s_add_co_i32 s6, s13, s6
	s_add_co_i32 s4, s4, -1
	s_add_co_i32 s6, s6, -1
	v_maxmin_i32 v1, s12, v4, s4
	s_max_i32 s4, s12, 0
	v_maxmin_i32 v0, s13, v0, s6
	s_sub_co_i32 s4, s7, s4
	s_mul_u64 s[2:3], s[8:9], s[2:3]
	v_add_nc_u32_e32 v4, s4, v1
	s_max_i32 s4, s13, 0
	s_lshl_b64 s[2:3], s[2:3], 3
	s_sub_co_i32 s4, s5, s4
	s_wait_kmcnt 0x0
	s_add_nc_u64 s[0:1], s[0:1], s[2:3]
	v_ashrrev_i32_e32 v5, 31, v4
	v_add_nc_u32_e32 v0, s4, v0
	s_mul_u64 s[4:5], s[10:11], s[14:15]
	s_delay_alu instid0(SALU_CYCLE_1) | instskip(NEXT) | instid1(VALU_DEP_2)
	s_lshl_b64 s[2:3], s[4:5], 3
	v_mul_u64_e32 v[4:5], s[16:17], v[4:5]
	s_delay_alu instid0(VALU_DEP_2) | instskip(SKIP_1) | instid1(VALU_DEP_1)
	v_ashrrev_i32_e32 v1, 31, v0
	s_add_nc_u64 s[0:1], s[0:1], s[2:3]
	v_mul_u64_e32 v[0:1], s[18:19], v[0:1]
	s_delay_alu instid0(VALU_DEP_3) | instskip(NEXT) | instid1(VALU_DEP_1)
	v_lshl_add_u64 v[4:5], v[4:5], 3, s[0:1]
	v_lshl_add_u64 v[0:1], v[0:1], 3, v[4:5]
	s_wait_xcnt 0x0
	s_wait_loadcnt 0x0
	global_atomic_add_f32 v[0:1], v2, off scope:SCOPE_DEV
	s_wait_xcnt 0x0
	global_atomic_add_f32 v[0:1], v3, off offset:4 scope:SCOPE_DEV
.LBB3_6:
	s_endpgm
	.section	.rodata,"a",@progbits
	.p2align	6, 0x0
	.amdhsa_kernel _ZN2at6native12_GLOBAL__N_131replication_pad_backward_kernelIN3c107complexIfEEEEvN5torch10headeronly6detail27GenericPackedTensorAccessorINS8_14TensorAccessorINS3_8ArrayRefIlEET_Lm3ENS7_16DefaultPtrTraitsElEENS_6detail16IndexBoundsCheckILm4ElEESD_Lm4ESE_lEENS9_INSA_ISC_KSD_Lm3ESE_lEESI_SK_Lm4ESE_lEEiiii
		.amdhsa_group_segment_fixed_size 0
		.amdhsa_private_segment_fixed_size 0
		.amdhsa_kernarg_size 416
		.amdhsa_user_sgpr_count 2
		.amdhsa_user_sgpr_dispatch_ptr 0
		.amdhsa_user_sgpr_queue_ptr 0
		.amdhsa_user_sgpr_kernarg_segment_ptr 1
		.amdhsa_user_sgpr_dispatch_id 0
		.amdhsa_user_sgpr_kernarg_preload_length 0
		.amdhsa_user_sgpr_kernarg_preload_offset 0
		.amdhsa_user_sgpr_private_segment_size 0
		.amdhsa_wavefront_size32 1
		.amdhsa_uses_dynamic_stack 0
		.amdhsa_enable_private_segment 0
		.amdhsa_system_sgpr_workgroup_id_x 1
		.amdhsa_system_sgpr_workgroup_id_y 1
		.amdhsa_system_sgpr_workgroup_id_z 1
		.amdhsa_system_sgpr_workgroup_info 0
		.amdhsa_system_vgpr_workitem_id 0
		.amdhsa_next_free_vgpr 18
		.amdhsa_next_free_sgpr 22
		.amdhsa_named_barrier_count 0
		.amdhsa_reserve_vcc 1
		.amdhsa_float_round_mode_32 0
		.amdhsa_float_round_mode_16_64 0
		.amdhsa_float_denorm_mode_32 3
		.amdhsa_float_denorm_mode_16_64 3
		.amdhsa_fp16_overflow 0
		.amdhsa_memory_ordered 1
		.amdhsa_forward_progress 1
		.amdhsa_inst_pref_size 11
		.amdhsa_round_robin_scheduling 0
		.amdhsa_exception_fp_ieee_invalid_op 0
		.amdhsa_exception_fp_denorm_src 0
		.amdhsa_exception_fp_ieee_div_zero 0
		.amdhsa_exception_fp_ieee_overflow 0
		.amdhsa_exception_fp_ieee_underflow 0
		.amdhsa_exception_fp_ieee_inexact 0
		.amdhsa_exception_int_div_zero 0
	.end_amdhsa_kernel
	.section	.text._ZN2at6native12_GLOBAL__N_131replication_pad_backward_kernelIN3c107complexIfEEEEvN5torch10headeronly6detail27GenericPackedTensorAccessorINS8_14TensorAccessorINS3_8ArrayRefIlEET_Lm3ENS7_16DefaultPtrTraitsElEENS_6detail16IndexBoundsCheckILm4ElEESD_Lm4ESE_lEENS9_INSA_ISC_KSD_Lm3ESE_lEESI_SK_Lm4ESE_lEEiiii,"axG",@progbits,_ZN2at6native12_GLOBAL__N_131replication_pad_backward_kernelIN3c107complexIfEEEEvN5torch10headeronly6detail27GenericPackedTensorAccessorINS8_14TensorAccessorINS3_8ArrayRefIlEET_Lm3ENS7_16DefaultPtrTraitsElEENS_6detail16IndexBoundsCheckILm4ElEESD_Lm4ESE_lEENS9_INSA_ISC_KSD_Lm3ESE_lEESI_SK_Lm4ESE_lEEiiii,comdat
.Lfunc_end3:
	.size	_ZN2at6native12_GLOBAL__N_131replication_pad_backward_kernelIN3c107complexIfEEEEvN5torch10headeronly6detail27GenericPackedTensorAccessorINS8_14TensorAccessorINS3_8ArrayRefIlEET_Lm3ENS7_16DefaultPtrTraitsElEENS_6detail16IndexBoundsCheckILm4ElEESD_Lm4ESE_lEENS9_INSA_ISC_KSD_Lm3ESE_lEESI_SK_Lm4ESE_lEEiiii, .Lfunc_end3-_ZN2at6native12_GLOBAL__N_131replication_pad_backward_kernelIN3c107complexIfEEEEvN5torch10headeronly6detail27GenericPackedTensorAccessorINS8_14TensorAccessorINS3_8ArrayRefIlEET_Lm3ENS7_16DefaultPtrTraitsElEENS_6detail16IndexBoundsCheckILm4ElEESD_Lm4ESE_lEENS9_INSA_ISC_KSD_Lm3ESE_lEESI_SK_Lm4ESE_lEEiiii
                                        ; -- End function
	.set _ZN2at6native12_GLOBAL__N_131replication_pad_backward_kernelIN3c107complexIfEEEEvN5torch10headeronly6detail27GenericPackedTensorAccessorINS8_14TensorAccessorINS3_8ArrayRefIlEET_Lm3ENS7_16DefaultPtrTraitsElEENS_6detail16IndexBoundsCheckILm4ElEESD_Lm4ESE_lEENS9_INSA_ISC_KSD_Lm3ESE_lEESI_SK_Lm4ESE_lEEiiii.num_vgpr, 18
	.set _ZN2at6native12_GLOBAL__N_131replication_pad_backward_kernelIN3c107complexIfEEEEvN5torch10headeronly6detail27GenericPackedTensorAccessorINS8_14TensorAccessorINS3_8ArrayRefIlEET_Lm3ENS7_16DefaultPtrTraitsElEENS_6detail16IndexBoundsCheckILm4ElEESD_Lm4ESE_lEENS9_INSA_ISC_KSD_Lm3ESE_lEESI_SK_Lm4ESE_lEEiiii.num_agpr, 0
	.set _ZN2at6native12_GLOBAL__N_131replication_pad_backward_kernelIN3c107complexIfEEEEvN5torch10headeronly6detail27GenericPackedTensorAccessorINS8_14TensorAccessorINS3_8ArrayRefIlEET_Lm3ENS7_16DefaultPtrTraitsElEENS_6detail16IndexBoundsCheckILm4ElEESD_Lm4ESE_lEENS9_INSA_ISC_KSD_Lm3ESE_lEESI_SK_Lm4ESE_lEEiiii.numbered_sgpr, 22
	.set _ZN2at6native12_GLOBAL__N_131replication_pad_backward_kernelIN3c107complexIfEEEEvN5torch10headeronly6detail27GenericPackedTensorAccessorINS8_14TensorAccessorINS3_8ArrayRefIlEET_Lm3ENS7_16DefaultPtrTraitsElEENS_6detail16IndexBoundsCheckILm4ElEESD_Lm4ESE_lEENS9_INSA_ISC_KSD_Lm3ESE_lEESI_SK_Lm4ESE_lEEiiii.num_named_barrier, 0
	.set _ZN2at6native12_GLOBAL__N_131replication_pad_backward_kernelIN3c107complexIfEEEEvN5torch10headeronly6detail27GenericPackedTensorAccessorINS8_14TensorAccessorINS3_8ArrayRefIlEET_Lm3ENS7_16DefaultPtrTraitsElEENS_6detail16IndexBoundsCheckILm4ElEESD_Lm4ESE_lEENS9_INSA_ISC_KSD_Lm3ESE_lEESI_SK_Lm4ESE_lEEiiii.private_seg_size, 0
	.set _ZN2at6native12_GLOBAL__N_131replication_pad_backward_kernelIN3c107complexIfEEEEvN5torch10headeronly6detail27GenericPackedTensorAccessorINS8_14TensorAccessorINS3_8ArrayRefIlEET_Lm3ENS7_16DefaultPtrTraitsElEENS_6detail16IndexBoundsCheckILm4ElEESD_Lm4ESE_lEENS9_INSA_ISC_KSD_Lm3ESE_lEESI_SK_Lm4ESE_lEEiiii.uses_vcc, 1
	.set _ZN2at6native12_GLOBAL__N_131replication_pad_backward_kernelIN3c107complexIfEEEEvN5torch10headeronly6detail27GenericPackedTensorAccessorINS8_14TensorAccessorINS3_8ArrayRefIlEET_Lm3ENS7_16DefaultPtrTraitsElEENS_6detail16IndexBoundsCheckILm4ElEESD_Lm4ESE_lEENS9_INSA_ISC_KSD_Lm3ESE_lEESI_SK_Lm4ESE_lEEiiii.uses_flat_scratch, 0
	.set _ZN2at6native12_GLOBAL__N_131replication_pad_backward_kernelIN3c107complexIfEEEEvN5torch10headeronly6detail27GenericPackedTensorAccessorINS8_14TensorAccessorINS3_8ArrayRefIlEET_Lm3ENS7_16DefaultPtrTraitsElEENS_6detail16IndexBoundsCheckILm4ElEESD_Lm4ESE_lEENS9_INSA_ISC_KSD_Lm3ESE_lEESI_SK_Lm4ESE_lEEiiii.has_dyn_sized_stack, 0
	.set _ZN2at6native12_GLOBAL__N_131replication_pad_backward_kernelIN3c107complexIfEEEEvN5torch10headeronly6detail27GenericPackedTensorAccessorINS8_14TensorAccessorINS3_8ArrayRefIlEET_Lm3ENS7_16DefaultPtrTraitsElEENS_6detail16IndexBoundsCheckILm4ElEESD_Lm4ESE_lEENS9_INSA_ISC_KSD_Lm3ESE_lEESI_SK_Lm4ESE_lEEiiii.has_recursion, 0
	.set _ZN2at6native12_GLOBAL__N_131replication_pad_backward_kernelIN3c107complexIfEEEEvN5torch10headeronly6detail27GenericPackedTensorAccessorINS8_14TensorAccessorINS3_8ArrayRefIlEET_Lm3ENS7_16DefaultPtrTraitsElEENS_6detail16IndexBoundsCheckILm4ElEESD_Lm4ESE_lEENS9_INSA_ISC_KSD_Lm3ESE_lEESI_SK_Lm4ESE_lEEiiii.has_indirect_call, 0
	.section	.AMDGPU.csdata,"",@progbits
; Kernel info:
; codeLenInByte = 1304
; TotalNumSgprs: 24
; NumVgprs: 18
; ScratchSize: 0
; MemoryBound: 0
; FloatMode: 240
; IeeeMode: 1
; LDSByteSize: 0 bytes/workgroup (compile time only)
; SGPRBlocks: 0
; VGPRBlocks: 1
; NumSGPRsForWavesPerEU: 24
; NumVGPRsForWavesPerEU: 18
; NamedBarCnt: 0
; Occupancy: 16
; WaveLimiterHint : 1
; COMPUTE_PGM_RSRC2:SCRATCH_EN: 0
; COMPUTE_PGM_RSRC2:USER_SGPR: 2
; COMPUTE_PGM_RSRC2:TRAP_HANDLER: 0
; COMPUTE_PGM_RSRC2:TGID_X_EN: 1
; COMPUTE_PGM_RSRC2:TGID_Y_EN: 1
; COMPUTE_PGM_RSRC2:TGID_Z_EN: 1
; COMPUTE_PGM_RSRC2:TIDIG_COMP_CNT: 0
	.section	.text._ZN2at6native12_GLOBAL__N_131replication_pad_backward_kernelIN3c104HalfEEEvN5torch10headeronly6detail27GenericPackedTensorAccessorINS7_14TensorAccessorINS3_8ArrayRefIlEET_Lm3ENS6_16DefaultPtrTraitsElEENS_6detail16IndexBoundsCheckILm4ElEESC_Lm4ESD_lEENS8_INS9_ISB_KSC_Lm3ESD_lEESH_SJ_Lm4ESD_lEEiiii,"axG",@progbits,_ZN2at6native12_GLOBAL__N_131replication_pad_backward_kernelIN3c104HalfEEEvN5torch10headeronly6detail27GenericPackedTensorAccessorINS7_14TensorAccessorINS3_8ArrayRefIlEET_Lm3ENS6_16DefaultPtrTraitsElEENS_6detail16IndexBoundsCheckILm4ElEESC_Lm4ESD_lEENS8_INS9_ISB_KSC_Lm3ESD_lEESH_SJ_Lm4ESD_lEEiiii,comdat
	.globl	_ZN2at6native12_GLOBAL__N_131replication_pad_backward_kernelIN3c104HalfEEEvN5torch10headeronly6detail27GenericPackedTensorAccessorINS7_14TensorAccessorINS3_8ArrayRefIlEET_Lm3ENS6_16DefaultPtrTraitsElEENS_6detail16IndexBoundsCheckILm4ElEESC_Lm4ESD_lEENS8_INS9_ISB_KSC_Lm3ESD_lEESH_SJ_Lm4ESD_lEEiiii ; -- Begin function _ZN2at6native12_GLOBAL__N_131replication_pad_backward_kernelIN3c104HalfEEEvN5torch10headeronly6detail27GenericPackedTensorAccessorINS7_14TensorAccessorINS3_8ArrayRefIlEET_Lm3ENS6_16DefaultPtrTraitsElEENS_6detail16IndexBoundsCheckILm4ElEESC_Lm4ESD_lEENS8_INS9_ISB_KSC_Lm3ESD_lEESH_SJ_Lm4ESD_lEEiiii
	.p2align	8
	.type	_ZN2at6native12_GLOBAL__N_131replication_pad_backward_kernelIN3c104HalfEEEvN5torch10headeronly6detail27GenericPackedTensorAccessorINS7_14TensorAccessorINS3_8ArrayRefIlEET_Lm3ENS6_16DefaultPtrTraitsElEENS_6detail16IndexBoundsCheckILm4ElEESC_Lm4ESD_lEENS8_INS9_ISB_KSC_Lm3ESD_lEESH_SJ_Lm4ESD_lEEiiii,@function
_ZN2at6native12_GLOBAL__N_131replication_pad_backward_kernelIN3c104HalfEEEvN5torch10headeronly6detail27GenericPackedTensorAccessorINS7_14TensorAccessorINS3_8ArrayRefIlEET_Lm3ENS6_16DefaultPtrTraitsElEENS_6detail16IndexBoundsCheckILm4ElEESC_Lm4ESD_lEENS8_INS9_ISB_KSC_Lm3ESD_lEESH_SJ_Lm4ESD_lEEiiii: ; @_ZN2at6native12_GLOBAL__N_131replication_pad_backward_kernelIN3c104HalfEEEvN5torch10headeronly6detail27GenericPackedTensorAccessorINS7_14TensorAccessorINS3_8ArrayRefIlEET_Lm3ENS6_16DefaultPtrTraitsElEENS_6detail16IndexBoundsCheckILm4ElEESC_Lm4ESD_lEENS8_INS9_ISB_KSC_Lm3ESD_lEESH_SJ_Lm4ESD_lEEiiii
; %bb.0:
	s_load_b32 s2, s[0:1], 0xac
	s_bfe_u32 s4, ttmp6, 0x4000c
	s_and_b32 s8, ttmp6, 15
	s_add_co_i32 s9, s4, 1
	s_getreg_b32 s3, hwreg(HW_REG_IB_STS2, 6, 4)
	s_mul_i32 s9, ttmp9, s9
	s_load_b128 s[4:7], s[0:1], 0x60
	s_add_co_i32 s8, s8, s9
	s_wait_kmcnt 0x0
	s_and_b32 s2, s2, 0xffff
	s_cmp_eq_u32 s3, 0
	s_cselect_b32 s8, ttmp9, s8
	s_delay_alu instid0(SALU_CYCLE_1) | instskip(SKIP_2) | instid1(VALU_DEP_1)
	v_mad_u32 v0, s8, s2, v0
	s_mul_u64 s[4:5], s[6:7], s[4:5]
	s_mov_b32 s2, exec_lo
	v_ashrrev_i32_e32 v1, 31, v0
	s_delay_alu instid0(VALU_DEP_1)
	v_cmpx_gt_i64_e64 s[4:5], v[0:1]
	s_cbranch_execz .LBB4_11
; %bb.1:
	v_dual_mov_b32 v4, 0 :: v_dual_bitop2_b32 v5, s7, v1 bitop3:0x54
                                        ; implicit-def: $vgpr2_vgpr3
	s_mov_b32 s2, exec_lo
	s_delay_alu instid0(VALU_DEP_1)
	v_cmpx_ne_u64_e32 0, v[4:5]
	s_xor_b32 s10, exec_lo, s2
	s_cbranch_execz .LBB4_3
; %bb.2:
	s_ashr_i32 s4, s7, 31
	s_mov_b32 s19, 0
	s_mov_b32 s5, s4
	v_dual_mov_b32 v9, v4 :: v_dual_ashrrev_i32 v2, 31, v1
	s_add_nc_u64 s[8:9], s[6:7], s[4:5]
	v_mov_b32_e32 v11, v4
	s_xor_b64 s[8:9], s[8:9], s[4:5]
	s_delay_alu instid0(VALU_DEP_2)
	v_mov_b32_e32 v3, v2
	s_cvt_f32_u32 s2, s8
	s_cvt_f32_u32 s5, s9
	s_sub_nc_u64 s[14:15], 0, s[8:9]
	v_mov_b32_e32 v17, v4
	v_add_nc_u64_e32 v[6:7], v[0:1], v[2:3]
	s_fmamk_f32 s2, s5, 0x4f800000, s2
	v_mov_b32_e32 v5, v4
	s_delay_alu instid0(SALU_CYCLE_2) | instskip(NEXT) | instid1(VALU_DEP_2)
	v_s_rcp_f32 s2, s2
	v_xor_b32_e32 v8, v6, v2
	s_delay_alu instid0(VALU_DEP_3) | instskip(SKIP_1) | instid1(TRANS32_DEP_1)
	v_xor_b32_e32 v10, v7, v2
	v_xor_b32_e32 v2, s4, v2
	s_mul_f32 s2, s2, 0x5f7ffffc
	s_delay_alu instid0(SALU_CYCLE_3) | instskip(NEXT) | instid1(SALU_CYCLE_3)
	s_mul_f32 s5, s2, 0x2f800000
	s_trunc_f32 s5, s5
	s_delay_alu instid0(SALU_CYCLE_3) | instskip(SKIP_1) | instid1(SALU_CYCLE_2)
	s_fmamk_f32 s2, s5, 0xcf800000, s2
	s_cvt_u32_f32 s13, s5
	s_cvt_u32_f32 s12, s2
	s_delay_alu instid0(SALU_CYCLE_3) | instskip(NEXT) | instid1(SALU_CYCLE_1)
	s_mul_u64 s[16:17], s[14:15], s[12:13]
	s_mul_hi_u32 s21, s12, s17
	s_mul_i32 s20, s12, s17
	s_mul_hi_u32 s18, s12, s16
	s_mul_i32 s5, s13, s16
	s_add_nc_u64 s[20:21], s[18:19], s[20:21]
	s_mul_hi_u32 s2, s13, s16
	s_mul_hi_u32 s11, s13, s17
	s_add_co_u32 s5, s20, s5
	s_add_co_ci_u32 s18, s21, s2
	s_mul_i32 s16, s13, s17
	s_add_co_ci_u32 s17, s11, 0
	s_delay_alu instid0(SALU_CYCLE_1) | instskip(NEXT) | instid1(SALU_CYCLE_1)
	s_add_nc_u64 s[16:17], s[18:19], s[16:17]
	s_add_co_u32 s12, s12, s16
	s_cselect_b32 s2, -1, 0
	s_delay_alu instid0(SALU_CYCLE_1) | instskip(SKIP_1) | instid1(SALU_CYCLE_1)
	s_cmp_lg_u32 s2, 0
	s_add_co_ci_u32 s13, s13, s17
	s_mul_u64 s[14:15], s[14:15], s[12:13]
	s_delay_alu instid0(SALU_CYCLE_1)
	s_mul_hi_u32 s17, s12, s15
	s_mul_i32 s16, s12, s15
	s_mul_hi_u32 s18, s12, s14
	s_mul_i32 s5, s13, s14
	s_add_nc_u64 s[16:17], s[18:19], s[16:17]
	s_mul_hi_u32 s2, s13, s14
	s_mul_hi_u32 s11, s13, s15
	s_add_co_u32 s5, s16, s5
	s_add_co_ci_u32 s18, s17, s2
	s_mul_i32 s14, s13, s15
	s_add_co_ci_u32 s15, s11, 0
	s_delay_alu instid0(SALU_CYCLE_1) | instskip(NEXT) | instid1(SALU_CYCLE_1)
	s_add_nc_u64 s[14:15], s[18:19], s[14:15]
	s_add_co_u32 s2, s12, s14
	s_cselect_b32 s5, -1, 0
	v_mul_hi_u32 v16, v8, s2
	s_cmp_lg_u32 s5, 0
	s_add_co_ci_u32 s18, s13, s15
	s_mov_b64 s[12:13], 0xffffffff
	v_mul_u64_e32 v[12:13], s[18:19], v[8:9]
	s_and_b64 s[12:13], s[2:3], s[12:13]
	v_mul_u64_e32 v[14:15], s[18:19], v[10:11]
	v_mul_u64_e32 v[6:7], s[12:13], v[10:11]
	s_delay_alu instid0(VALU_DEP_3) | instskip(NEXT) | instid1(VALU_DEP_1)
	v_add_nc_u64_e32 v[12:13], v[16:17], v[12:13]
	v_add_co_u32 v3, vcc_lo, v12, v6
	s_delay_alu instid0(VALU_DEP_2) | instskip(SKIP_1) | instid1(VALU_DEP_1)
	v_add_co_ci_u32_e32 v4, vcc_lo, v13, v7, vcc_lo
	v_add_co_ci_u32_e32 v15, vcc_lo, 0, v15, vcc_lo
	v_add_nc_u64_e32 v[4:5], v[4:5], v[14:15]
	s_delay_alu instid0(VALU_DEP_1) | instskip(NEXT) | instid1(VALU_DEP_1)
	v_mul_u64_e32 v[6:7], s[8:9], v[4:5]
	v_sub_nc_u32_e32 v3, v10, v7
	s_delay_alu instid0(VALU_DEP_2) | instskip(NEXT) | instid1(VALU_DEP_1)
	v_sub_co_u32 v6, vcc_lo, v8, v6
	v_sub_co_ci_u32_e64 v10, null, v10, v7, vcc_lo
	s_delay_alu instid0(VALU_DEP_3) | instskip(NEXT) | instid1(VALU_DEP_3)
	v_subrev_co_ci_u32_e64 v3, null, s9, v3, vcc_lo
	v_sub_co_u32 v8, s2, v6, s8
	s_delay_alu instid0(VALU_DEP_1) | instskip(NEXT) | instid1(VALU_DEP_2)
	v_subrev_co_ci_u32_e64 v3, null, 0, v3, s2
	v_cmp_le_u32_e32 vcc_lo, s8, v8
	v_cndmask_b32_e64 v7, 0, -1, vcc_lo
	s_delay_alu instid0(VALU_DEP_3)
	v_cmp_le_u32_e32 vcc_lo, s9, v3
	v_cndmask_b32_e64 v8, 0, -1, vcc_lo
	v_cmp_le_u32_e32 vcc_lo, s8, v6
	v_cndmask_b32_e64 v11, 0, -1, vcc_lo
	;; [unrolled: 2-line block ×3, first 2 shown]
	v_cmp_eq_u32_e32 vcc_lo, s9, v3
	v_cndmask_b32_e32 v3, v8, v7, vcc_lo
	v_cmp_eq_u32_e32 vcc_lo, s9, v10
	v_add_nc_u64_e32 v[6:7], 2, v[4:5]
	v_add_nc_u64_e32 v[8:9], 1, v[4:5]
	v_cndmask_b32_e32 v10, v12, v11, vcc_lo
	v_cmp_ne_u32_e32 vcc_lo, 0, v3
	s_delay_alu instid0(VALU_DEP_2) | instskip(NEXT) | instid1(VALU_DEP_4)
	v_cmp_ne_u32_e64 s2, 0, v10
	v_dual_cndmask_b32 v6, v8, v6 :: v_dual_cndmask_b32 v3, v9, v7
	s_delay_alu instid0(VALU_DEP_1) | instskip(NEXT) | instid1(VALU_DEP_1)
	v_dual_cndmask_b32 v4, v4, v6, s2 :: v_dual_cndmask_b32 v5, v5, v3, s2
	v_dual_mov_b32 v3, v2 :: v_dual_bitop2_b32 v4, v4, v2 bitop3:0x14
	s_delay_alu instid0(VALU_DEP_2) | instskip(NEXT) | instid1(VALU_DEP_1)
	v_xor_b32_e32 v5, v5, v2
	v_sub_nc_u64_e32 v[2:3], v[4:5], v[2:3]
.LBB4_3:
	s_and_not1_saveexec_b32 s2, s10
	s_cbranch_execz .LBB4_5
; %bb.4:
	v_cvt_f32_u32_e32 v2, s6
	s_sub_co_i32 s4, 0, s6
	s_delay_alu instid0(VALU_DEP_1) | instskip(SKIP_1) | instid1(TRANS32_DEP_1)
	v_rcp_iflag_f32_e32 v2, v2
	v_nop
	v_mul_f32_e32 v2, 0x4f7ffffe, v2
	s_delay_alu instid0(VALU_DEP_1) | instskip(NEXT) | instid1(VALU_DEP_1)
	v_cvt_u32_f32_e32 v2, v2
	v_mul_lo_u32 v3, s4, v2
	s_delay_alu instid0(VALU_DEP_1) | instskip(NEXT) | instid1(VALU_DEP_1)
	v_mul_hi_u32 v3, v2, v3
	v_add_nc_u32_e32 v2, v2, v3
	s_delay_alu instid0(VALU_DEP_1) | instskip(NEXT) | instid1(VALU_DEP_1)
	v_mul_hi_u32 v2, v0, v2
	v_mul_lo_u32 v3, v2, s6
	s_delay_alu instid0(VALU_DEP_1) | instskip(NEXT) | instid1(VALU_DEP_1)
	v_dual_add_nc_u32 v4, 1, v2 :: v_dual_sub_nc_u32 v3, v0, v3
	v_subrev_nc_u32_e32 v5, s6, v3
	v_cmp_le_u32_e32 vcc_lo, s6, v3
	s_delay_alu instid0(VALU_DEP_2) | instskip(NEXT) | instid1(VALU_DEP_1)
	v_dual_cndmask_b32 v3, v3, v5 :: v_dual_cndmask_b32 v2, v2, v4
	v_cmp_le_u32_e32 vcc_lo, s6, v3
	s_delay_alu instid0(VALU_DEP_2) | instskip(NEXT) | instid1(VALU_DEP_1)
	v_dual_mov_b32 v3, 0 :: v_dual_add_nc_u32 v4, 1, v2
	v_cndmask_b32_e32 v2, v2, v4, vcc_lo
.LBB4_5:
	s_or_b32 exec_lo, exec_lo, s2
	s_delay_alu instid0(VALU_DEP_1)
	v_mul_u64_e32 v[4:5], s[6:7], v[2:3]
	s_clause 0x1
	s_load_b128 s[12:15], s[0:1], 0x90
	s_load_b256 s[4:11], s[0:1], 0x18
	s_wait_kmcnt 0x0
	s_bfe_u32 s5, ttmp6, 0x40014
	s_bfe_u32 s16, ttmp6, 0x40010
	s_lshr_b32 s2, ttmp7, 16
	s_and_b32 s20, ttmp7, 0xffff
	s_add_co_i32 s5, s5, 1
	s_add_co_i32 s16, s16, 1
	s_bfe_u32 s7, ttmp6, 0x40008
	s_bfe_u32 s17, ttmp6, 0x40004
	s_mul_i32 s5, s2, s5
	s_mul_i32 s16, s20, s16
	s_add_co_i32 s7, s7, s5
	s_add_co_i32 s5, s17, s16
	s_cmp_eq_u32 s3, 0
	s_load_b128 s[16:19], s[0:1], 0x38
	s_cselect_b32 s5, s20, s5
	s_cselect_b32 s7, s2, s7
	s_sub_co_i32 s3, 0, s12
	s_add_co_i32 s4, s12, s4
	s_sub_co_i32 s2, 0, s13
	s_add_co_i32 s4, s4, -1
	s_max_i32 s21, s12, 0
	v_maxmin_i32 v3, s12, v2, s4
	s_max_i32 s3, s3, 0
	s_add_co_i32 s4, s13, s6
	s_max_i32 s20, s13, 0
	s_sub_co_i32 s3, s3, s21
	s_add_co_i32 s4, s4, -1
	s_max_i32 s2, s2, 0
	v_sub_nc_u64_e32 v[0:1], v[0:1], v[4:5]
	s_sub_co_i32 s2, s2, s20
	v_add_nc_u32_e32 v4, s3, v3
	s_load_b256 s[20:27], s[0:1], 0x70
	s_add_co_i32 s6, s14, s5
	s_delay_alu instid0(VALU_DEP_2)
	v_maxmin_i32 v3, s13, v0, s4
	s_add_co_i32 s4, s15, s7
	s_ashr_i32 s7, s6, 31
	s_ashr_i32 s5, s4, 31
	s_mul_u64 s[10:11], s[10:11], s[6:7]
	v_dual_add_nc_u32 v6, s2, v3 :: v_dual_ashrrev_i32 v5, 31, v4
	s_load_b64 s[2:3], s[0:1], 0x0
	s_mul_u64 s[8:9], s[8:9], s[4:5]
	s_lshl_b64 s[10:11], s[10:11], 1
	s_delay_alu instid0(VALU_DEP_1)
	v_ashrrev_i32_e32 v7, 31, v6
	s_wait_kmcnt 0x0
	v_mul_u64_e32 v[4:5], s[16:17], v[4:5]
	s_lshl_b64 s[8:9], s[8:9], 1
	s_load_b64 s[0:1], s[0:1], 0x48
	v_mul_u64_e32 v[6:7], s[18:19], v[6:7]
	v_mul_u64_e32 v[8:9], s[26:27], v[0:1]
	s_add_nc_u64 s[2:3], s[2:3], s[8:9]
	s_delay_alu instid0(SALU_CYCLE_1)
	s_add_nc_u64 s[2:3], s[2:3], s[10:11]
	s_delay_alu instid0(VALU_DEP_3) | instid1(SALU_CYCLE_1)
	v_lshl_add_u64 v[0:1], v[4:5], 1, s[2:3]
	s_mul_u64 s[2:3], s[20:21], s[4:5]
	s_mul_u64 s[4:5], s[22:23], s[6:7]
	s_lshl_b64 s[2:3], s[2:3], 1
	s_delay_alu instid0(VALU_DEP_1)
	v_lshl_add_u64 v[0:1], v[6:7], 1, v[0:1]
	v_dual_ashrrev_i32 v3, 31, v2 :: v_dual_mov_b32 v7, 0
	s_wait_kmcnt 0x0
	s_add_nc_u64 s[0:1], s[0:1], s[2:3]
	s_lshl_b64 s[2:3], s[4:5], 1
	v_and_b32_e32 v6, 2, v0
	v_mul_u64_e32 v[2:3], s[24:25], v[2:3]
	s_add_nc_u64 s[0:1], s[0:1], s[2:3]
	s_mov_b32 s2, 0
	s_delay_alu instid0(VALU_DEP_2) | instskip(SKIP_1) | instid1(VALU_DEP_2)
	v_sub_nc_u64_e32 v[4:5], 0, v[6:7]
	v_cmp_eq_u64_e32 vcc_lo, 0, v[6:7]
	v_add_nc_u64_e32 v[0:1], v[0:1], v[4:5]
	s_delay_alu instid0(VALU_DEP_4) | instskip(SKIP_1) | instid1(VALU_DEP_2)
	v_lshl_add_u64 v[2:3], v[2:3], 1, s[0:1]
	v_cmp_ne_u32_e64 s0, 0, v6
	v_lshl_add_u64 v[8:9], v[8:9], 1, v[2:3]
	global_load_u16 v4, v[8:9], off
	global_load_b32 v3, v[0:1], off
	s_branch .LBB4_7
.LBB4_6:                                ;   in Loop: Header=BB4_7 Depth=1
	s_or_b32 exec_lo, exec_lo, s1
	global_atomic_cmpswap_b32 v2, v[0:1], v[2:3], off th:TH_ATOMIC_RETURN scope:SCOPE_DEV
	s_wait_loadcnt 0x0
	v_cmp_eq_u32_e64 s1, v3, v2
	v_mov_b32_e32 v3, v2
	s_or_b32 s2, s1, s2
	s_delay_alu instid0(SALU_CYCLE_1)
	s_and_not1_b32 exec_lo, exec_lo, s2
	s_cbranch_execz .LBB4_11
.LBB4_7:                                ; =>This Inner Loop Header: Depth=1
	s_wait_loadcnt 0x0
	v_lshrrev_b32_e32 v2, 16, v3
	s_delay_alu instid0(VALU_DEP_1) | instskip(NEXT) | instid1(VALU_DEP_1)
	v_cndmask_b32_e32 v2, v2, v3, vcc_lo
	v_add_f16_e32 v2, v4, v2
	s_delay_alu instid0(VALU_DEP_1) | instskip(SKIP_1) | instid1(SALU_CYCLE_1)
	v_and_b32_e32 v5, 0xffff, v2
	s_and_saveexec_b32 s1, s0
	s_xor_b32 s1, exec_lo, s1
; %bb.8:                                ;   in Loop: Header=BB4_7 Depth=1
	v_and_b32_e32 v2, 0xffff, v3
	s_delay_alu instid0(VALU_DEP_1)
	v_lshl_or_b32 v2, v5, 16, v2
                                        ; implicit-def: $vgpr5
; %bb.9:                                ;   in Loop: Header=BB4_7 Depth=1
	s_and_not1_saveexec_b32 s1, s1
	s_cbranch_execz .LBB4_6
; %bb.10:                               ;   in Loop: Header=BB4_7 Depth=1
	v_and_or_b32 v2, 0xffff0000, v3, v5
	s_branch .LBB4_6
.LBB4_11:
	s_endpgm
	.section	.rodata,"a",@progbits
	.p2align	6, 0x0
	.amdhsa_kernel _ZN2at6native12_GLOBAL__N_131replication_pad_backward_kernelIN3c104HalfEEEvN5torch10headeronly6detail27GenericPackedTensorAccessorINS7_14TensorAccessorINS3_8ArrayRefIlEET_Lm3ENS6_16DefaultPtrTraitsElEENS_6detail16IndexBoundsCheckILm4ElEESC_Lm4ESD_lEENS8_INS9_ISB_KSC_Lm3ESD_lEESH_SJ_Lm4ESD_lEEiiii
		.amdhsa_group_segment_fixed_size 0
		.amdhsa_private_segment_fixed_size 0
		.amdhsa_kernarg_size 416
		.amdhsa_user_sgpr_count 2
		.amdhsa_user_sgpr_dispatch_ptr 0
		.amdhsa_user_sgpr_queue_ptr 0
		.amdhsa_user_sgpr_kernarg_segment_ptr 1
		.amdhsa_user_sgpr_dispatch_id 0
		.amdhsa_user_sgpr_kernarg_preload_length 0
		.amdhsa_user_sgpr_kernarg_preload_offset 0
		.amdhsa_user_sgpr_private_segment_size 0
		.amdhsa_wavefront_size32 1
		.amdhsa_uses_dynamic_stack 0
		.amdhsa_enable_private_segment 0
		.amdhsa_system_sgpr_workgroup_id_x 1
		.amdhsa_system_sgpr_workgroup_id_y 1
		.amdhsa_system_sgpr_workgroup_id_z 1
		.amdhsa_system_sgpr_workgroup_info 0
		.amdhsa_system_vgpr_workitem_id 0
		.amdhsa_next_free_vgpr 18
		.amdhsa_next_free_sgpr 28
		.amdhsa_named_barrier_count 0
		.amdhsa_reserve_vcc 1
		.amdhsa_float_round_mode_32 0
		.amdhsa_float_round_mode_16_64 0
		.amdhsa_float_denorm_mode_32 3
		.amdhsa_float_denorm_mode_16_64 3
		.amdhsa_fp16_overflow 0
		.amdhsa_memory_ordered 1
		.amdhsa_forward_progress 1
		.amdhsa_inst_pref_size 12
		.amdhsa_round_robin_scheduling 0
		.amdhsa_exception_fp_ieee_invalid_op 0
		.amdhsa_exception_fp_denorm_src 0
		.amdhsa_exception_fp_ieee_div_zero 0
		.amdhsa_exception_fp_ieee_overflow 0
		.amdhsa_exception_fp_ieee_underflow 0
		.amdhsa_exception_fp_ieee_inexact 0
		.amdhsa_exception_int_div_zero 0
	.end_amdhsa_kernel
	.section	.text._ZN2at6native12_GLOBAL__N_131replication_pad_backward_kernelIN3c104HalfEEEvN5torch10headeronly6detail27GenericPackedTensorAccessorINS7_14TensorAccessorINS3_8ArrayRefIlEET_Lm3ENS6_16DefaultPtrTraitsElEENS_6detail16IndexBoundsCheckILm4ElEESC_Lm4ESD_lEENS8_INS9_ISB_KSC_Lm3ESD_lEESH_SJ_Lm4ESD_lEEiiii,"axG",@progbits,_ZN2at6native12_GLOBAL__N_131replication_pad_backward_kernelIN3c104HalfEEEvN5torch10headeronly6detail27GenericPackedTensorAccessorINS7_14TensorAccessorINS3_8ArrayRefIlEET_Lm3ENS6_16DefaultPtrTraitsElEENS_6detail16IndexBoundsCheckILm4ElEESC_Lm4ESD_lEENS8_INS9_ISB_KSC_Lm3ESD_lEESH_SJ_Lm4ESD_lEEiiii,comdat
.Lfunc_end4:
	.size	_ZN2at6native12_GLOBAL__N_131replication_pad_backward_kernelIN3c104HalfEEEvN5torch10headeronly6detail27GenericPackedTensorAccessorINS7_14TensorAccessorINS3_8ArrayRefIlEET_Lm3ENS6_16DefaultPtrTraitsElEENS_6detail16IndexBoundsCheckILm4ElEESC_Lm4ESD_lEENS8_INS9_ISB_KSC_Lm3ESD_lEESH_SJ_Lm4ESD_lEEiiii, .Lfunc_end4-_ZN2at6native12_GLOBAL__N_131replication_pad_backward_kernelIN3c104HalfEEEvN5torch10headeronly6detail27GenericPackedTensorAccessorINS7_14TensorAccessorINS3_8ArrayRefIlEET_Lm3ENS6_16DefaultPtrTraitsElEENS_6detail16IndexBoundsCheckILm4ElEESC_Lm4ESD_lEENS8_INS9_ISB_KSC_Lm3ESD_lEESH_SJ_Lm4ESD_lEEiiii
                                        ; -- End function
	.set _ZN2at6native12_GLOBAL__N_131replication_pad_backward_kernelIN3c104HalfEEEvN5torch10headeronly6detail27GenericPackedTensorAccessorINS7_14TensorAccessorINS3_8ArrayRefIlEET_Lm3ENS6_16DefaultPtrTraitsElEENS_6detail16IndexBoundsCheckILm4ElEESC_Lm4ESD_lEENS8_INS9_ISB_KSC_Lm3ESD_lEESH_SJ_Lm4ESD_lEEiiii.num_vgpr, 18
	.set _ZN2at6native12_GLOBAL__N_131replication_pad_backward_kernelIN3c104HalfEEEvN5torch10headeronly6detail27GenericPackedTensorAccessorINS7_14TensorAccessorINS3_8ArrayRefIlEET_Lm3ENS6_16DefaultPtrTraitsElEENS_6detail16IndexBoundsCheckILm4ElEESC_Lm4ESD_lEENS8_INS9_ISB_KSC_Lm3ESD_lEESH_SJ_Lm4ESD_lEEiiii.num_agpr, 0
	.set _ZN2at6native12_GLOBAL__N_131replication_pad_backward_kernelIN3c104HalfEEEvN5torch10headeronly6detail27GenericPackedTensorAccessorINS7_14TensorAccessorINS3_8ArrayRefIlEET_Lm3ENS6_16DefaultPtrTraitsElEENS_6detail16IndexBoundsCheckILm4ElEESC_Lm4ESD_lEENS8_INS9_ISB_KSC_Lm3ESD_lEESH_SJ_Lm4ESD_lEEiiii.numbered_sgpr, 28
	.set _ZN2at6native12_GLOBAL__N_131replication_pad_backward_kernelIN3c104HalfEEEvN5torch10headeronly6detail27GenericPackedTensorAccessorINS7_14TensorAccessorINS3_8ArrayRefIlEET_Lm3ENS6_16DefaultPtrTraitsElEENS_6detail16IndexBoundsCheckILm4ElEESC_Lm4ESD_lEENS8_INS9_ISB_KSC_Lm3ESD_lEESH_SJ_Lm4ESD_lEEiiii.num_named_barrier, 0
	.set _ZN2at6native12_GLOBAL__N_131replication_pad_backward_kernelIN3c104HalfEEEvN5torch10headeronly6detail27GenericPackedTensorAccessorINS7_14TensorAccessorINS3_8ArrayRefIlEET_Lm3ENS6_16DefaultPtrTraitsElEENS_6detail16IndexBoundsCheckILm4ElEESC_Lm4ESD_lEENS8_INS9_ISB_KSC_Lm3ESD_lEESH_SJ_Lm4ESD_lEEiiii.private_seg_size, 0
	.set _ZN2at6native12_GLOBAL__N_131replication_pad_backward_kernelIN3c104HalfEEEvN5torch10headeronly6detail27GenericPackedTensorAccessorINS7_14TensorAccessorINS3_8ArrayRefIlEET_Lm3ENS6_16DefaultPtrTraitsElEENS_6detail16IndexBoundsCheckILm4ElEESC_Lm4ESD_lEENS8_INS9_ISB_KSC_Lm3ESD_lEESH_SJ_Lm4ESD_lEEiiii.uses_vcc, 1
	.set _ZN2at6native12_GLOBAL__N_131replication_pad_backward_kernelIN3c104HalfEEEvN5torch10headeronly6detail27GenericPackedTensorAccessorINS7_14TensorAccessorINS3_8ArrayRefIlEET_Lm3ENS6_16DefaultPtrTraitsElEENS_6detail16IndexBoundsCheckILm4ElEESC_Lm4ESD_lEENS8_INS9_ISB_KSC_Lm3ESD_lEESH_SJ_Lm4ESD_lEEiiii.uses_flat_scratch, 0
	.set _ZN2at6native12_GLOBAL__N_131replication_pad_backward_kernelIN3c104HalfEEEvN5torch10headeronly6detail27GenericPackedTensorAccessorINS7_14TensorAccessorINS3_8ArrayRefIlEET_Lm3ENS6_16DefaultPtrTraitsElEENS_6detail16IndexBoundsCheckILm4ElEESC_Lm4ESD_lEENS8_INS9_ISB_KSC_Lm3ESD_lEESH_SJ_Lm4ESD_lEEiiii.has_dyn_sized_stack, 0
	.set _ZN2at6native12_GLOBAL__N_131replication_pad_backward_kernelIN3c104HalfEEEvN5torch10headeronly6detail27GenericPackedTensorAccessorINS7_14TensorAccessorINS3_8ArrayRefIlEET_Lm3ENS6_16DefaultPtrTraitsElEENS_6detail16IndexBoundsCheckILm4ElEESC_Lm4ESD_lEENS8_INS9_ISB_KSC_Lm3ESD_lEESH_SJ_Lm4ESD_lEEiiii.has_recursion, 0
	.set _ZN2at6native12_GLOBAL__N_131replication_pad_backward_kernelIN3c104HalfEEEvN5torch10headeronly6detail27GenericPackedTensorAccessorINS7_14TensorAccessorINS3_8ArrayRefIlEET_Lm3ENS6_16DefaultPtrTraitsElEENS_6detail16IndexBoundsCheckILm4ElEESC_Lm4ESD_lEENS8_INS9_ISB_KSC_Lm3ESD_lEESH_SJ_Lm4ESD_lEEiiii.has_indirect_call, 0
	.section	.AMDGPU.csdata,"",@progbits
; Kernel info:
; codeLenInByte = 1436
; TotalNumSgprs: 30
; NumVgprs: 18
; ScratchSize: 0
; MemoryBound: 0
; FloatMode: 240
; IeeeMode: 1
; LDSByteSize: 0 bytes/workgroup (compile time only)
; SGPRBlocks: 0
; VGPRBlocks: 1
; NumSGPRsForWavesPerEU: 30
; NumVGPRsForWavesPerEU: 18
; NamedBarCnt: 0
; Occupancy: 16
; WaveLimiterHint : 1
; COMPUTE_PGM_RSRC2:SCRATCH_EN: 0
; COMPUTE_PGM_RSRC2:USER_SGPR: 2
; COMPUTE_PGM_RSRC2:TRAP_HANDLER: 0
; COMPUTE_PGM_RSRC2:TGID_X_EN: 1
; COMPUTE_PGM_RSRC2:TGID_Y_EN: 1
; COMPUTE_PGM_RSRC2:TGID_Z_EN: 1
; COMPUTE_PGM_RSRC2:TIDIG_COMP_CNT: 0
	.section	.text._ZN2at6native12_GLOBAL__N_131replication_pad_backward_kernelIN3c108BFloat16EEEvN5torch10headeronly6detail27GenericPackedTensorAccessorINS7_14TensorAccessorINS3_8ArrayRefIlEET_Lm3ENS6_16DefaultPtrTraitsElEENS_6detail16IndexBoundsCheckILm4ElEESC_Lm4ESD_lEENS8_INS9_ISB_KSC_Lm3ESD_lEESH_SJ_Lm4ESD_lEEiiii,"axG",@progbits,_ZN2at6native12_GLOBAL__N_131replication_pad_backward_kernelIN3c108BFloat16EEEvN5torch10headeronly6detail27GenericPackedTensorAccessorINS7_14TensorAccessorINS3_8ArrayRefIlEET_Lm3ENS6_16DefaultPtrTraitsElEENS_6detail16IndexBoundsCheckILm4ElEESC_Lm4ESD_lEENS8_INS9_ISB_KSC_Lm3ESD_lEESH_SJ_Lm4ESD_lEEiiii,comdat
	.globl	_ZN2at6native12_GLOBAL__N_131replication_pad_backward_kernelIN3c108BFloat16EEEvN5torch10headeronly6detail27GenericPackedTensorAccessorINS7_14TensorAccessorINS3_8ArrayRefIlEET_Lm3ENS6_16DefaultPtrTraitsElEENS_6detail16IndexBoundsCheckILm4ElEESC_Lm4ESD_lEENS8_INS9_ISB_KSC_Lm3ESD_lEESH_SJ_Lm4ESD_lEEiiii ; -- Begin function _ZN2at6native12_GLOBAL__N_131replication_pad_backward_kernelIN3c108BFloat16EEEvN5torch10headeronly6detail27GenericPackedTensorAccessorINS7_14TensorAccessorINS3_8ArrayRefIlEET_Lm3ENS6_16DefaultPtrTraitsElEENS_6detail16IndexBoundsCheckILm4ElEESC_Lm4ESD_lEENS8_INS9_ISB_KSC_Lm3ESD_lEESH_SJ_Lm4ESD_lEEiiii
	.p2align	8
	.type	_ZN2at6native12_GLOBAL__N_131replication_pad_backward_kernelIN3c108BFloat16EEEvN5torch10headeronly6detail27GenericPackedTensorAccessorINS7_14TensorAccessorINS3_8ArrayRefIlEET_Lm3ENS6_16DefaultPtrTraitsElEENS_6detail16IndexBoundsCheckILm4ElEESC_Lm4ESD_lEENS8_INS9_ISB_KSC_Lm3ESD_lEESH_SJ_Lm4ESD_lEEiiii,@function
_ZN2at6native12_GLOBAL__N_131replication_pad_backward_kernelIN3c108BFloat16EEEvN5torch10headeronly6detail27GenericPackedTensorAccessorINS7_14TensorAccessorINS3_8ArrayRefIlEET_Lm3ENS6_16DefaultPtrTraitsElEENS_6detail16IndexBoundsCheckILm4ElEESC_Lm4ESD_lEENS8_INS9_ISB_KSC_Lm3ESD_lEESH_SJ_Lm4ESD_lEEiiii: ; @_ZN2at6native12_GLOBAL__N_131replication_pad_backward_kernelIN3c108BFloat16EEEvN5torch10headeronly6detail27GenericPackedTensorAccessorINS7_14TensorAccessorINS3_8ArrayRefIlEET_Lm3ENS6_16DefaultPtrTraitsElEENS_6detail16IndexBoundsCheckILm4ElEESC_Lm4ESD_lEENS8_INS9_ISB_KSC_Lm3ESD_lEESH_SJ_Lm4ESD_lEEiiii
; %bb.0:
	s_load_b32 s2, s[0:1], 0xac
	s_bfe_u32 s4, ttmp6, 0x4000c
	s_and_b32 s8, ttmp6, 15
	s_add_co_i32 s9, s4, 1
	s_getreg_b32 s3, hwreg(HW_REG_IB_STS2, 6, 4)
	s_mul_i32 s9, ttmp9, s9
	s_load_b128 s[4:7], s[0:1], 0x60
	s_add_co_i32 s8, s8, s9
	s_wait_kmcnt 0x0
	s_and_b32 s2, s2, 0xffff
	s_cmp_eq_u32 s3, 0
	s_cselect_b32 s8, ttmp9, s8
	s_delay_alu instid0(SALU_CYCLE_1) | instskip(SKIP_2) | instid1(VALU_DEP_1)
	v_mad_u32 v0, s8, s2, v0
	s_mul_u64 s[4:5], s[6:7], s[4:5]
	s_mov_b32 s2, exec_lo
	v_ashrrev_i32_e32 v1, 31, v0
	s_delay_alu instid0(VALU_DEP_1)
	v_cmpx_gt_i64_e64 s[4:5], v[0:1]
	s_cbranch_execz .LBB5_7
; %bb.1:
	v_dual_mov_b32 v4, 0 :: v_dual_bitop2_b32 v5, s7, v1 bitop3:0x54
                                        ; implicit-def: $vgpr2_vgpr3
	s_mov_b32 s2, exec_lo
	s_delay_alu instid0(VALU_DEP_1)
	v_cmpx_ne_u64_e32 0, v[4:5]
	s_xor_b32 s10, exec_lo, s2
	s_cbranch_execz .LBB5_3
; %bb.2:
	s_ashr_i32 s4, s7, 31
	s_mov_b32 s19, 0
	s_mov_b32 s5, s4
	v_dual_mov_b32 v9, v4 :: v_dual_ashrrev_i32 v2, 31, v1
	s_add_nc_u64 s[8:9], s[6:7], s[4:5]
	v_mov_b32_e32 v11, v4
	s_xor_b64 s[8:9], s[8:9], s[4:5]
	s_delay_alu instid0(VALU_DEP_2)
	v_mov_b32_e32 v3, v2
	s_cvt_f32_u32 s2, s8
	s_cvt_f32_u32 s5, s9
	s_sub_nc_u64 s[14:15], 0, s[8:9]
	v_mov_b32_e32 v17, v4
	v_add_nc_u64_e32 v[6:7], v[0:1], v[2:3]
	s_fmamk_f32 s2, s5, 0x4f800000, s2
	v_mov_b32_e32 v5, v4
	s_delay_alu instid0(SALU_CYCLE_2) | instskip(NEXT) | instid1(VALU_DEP_2)
	v_s_rcp_f32 s2, s2
	v_xor_b32_e32 v8, v6, v2
	s_delay_alu instid0(VALU_DEP_3) | instskip(SKIP_1) | instid1(TRANS32_DEP_1)
	v_xor_b32_e32 v10, v7, v2
	v_xor_b32_e32 v2, s4, v2
	s_mul_f32 s2, s2, 0x5f7ffffc
	s_delay_alu instid0(SALU_CYCLE_3) | instskip(NEXT) | instid1(SALU_CYCLE_3)
	s_mul_f32 s5, s2, 0x2f800000
	s_trunc_f32 s5, s5
	s_delay_alu instid0(SALU_CYCLE_3) | instskip(SKIP_1) | instid1(SALU_CYCLE_2)
	s_fmamk_f32 s2, s5, 0xcf800000, s2
	s_cvt_u32_f32 s13, s5
	s_cvt_u32_f32 s12, s2
	s_delay_alu instid0(SALU_CYCLE_3) | instskip(NEXT) | instid1(SALU_CYCLE_1)
	s_mul_u64 s[16:17], s[14:15], s[12:13]
	s_mul_hi_u32 s21, s12, s17
	s_mul_i32 s20, s12, s17
	s_mul_hi_u32 s18, s12, s16
	s_mul_i32 s5, s13, s16
	s_add_nc_u64 s[20:21], s[18:19], s[20:21]
	s_mul_hi_u32 s2, s13, s16
	s_mul_hi_u32 s11, s13, s17
	s_add_co_u32 s5, s20, s5
	s_add_co_ci_u32 s18, s21, s2
	s_mul_i32 s16, s13, s17
	s_add_co_ci_u32 s17, s11, 0
	s_delay_alu instid0(SALU_CYCLE_1) | instskip(NEXT) | instid1(SALU_CYCLE_1)
	s_add_nc_u64 s[16:17], s[18:19], s[16:17]
	s_add_co_u32 s12, s12, s16
	s_cselect_b32 s2, -1, 0
	s_delay_alu instid0(SALU_CYCLE_1) | instskip(SKIP_1) | instid1(SALU_CYCLE_1)
	s_cmp_lg_u32 s2, 0
	s_add_co_ci_u32 s13, s13, s17
	s_mul_u64 s[14:15], s[14:15], s[12:13]
	s_delay_alu instid0(SALU_CYCLE_1)
	s_mul_hi_u32 s17, s12, s15
	s_mul_i32 s16, s12, s15
	s_mul_hi_u32 s18, s12, s14
	s_mul_i32 s5, s13, s14
	s_add_nc_u64 s[16:17], s[18:19], s[16:17]
	s_mul_hi_u32 s2, s13, s14
	s_mul_hi_u32 s11, s13, s15
	s_add_co_u32 s5, s16, s5
	s_add_co_ci_u32 s18, s17, s2
	s_mul_i32 s14, s13, s15
	s_add_co_ci_u32 s15, s11, 0
	s_delay_alu instid0(SALU_CYCLE_1) | instskip(NEXT) | instid1(SALU_CYCLE_1)
	s_add_nc_u64 s[14:15], s[18:19], s[14:15]
	s_add_co_u32 s2, s12, s14
	s_cselect_b32 s5, -1, 0
	v_mul_hi_u32 v16, v8, s2
	s_cmp_lg_u32 s5, 0
	s_add_co_ci_u32 s18, s13, s15
	s_mov_b64 s[12:13], 0xffffffff
	v_mul_u64_e32 v[12:13], s[18:19], v[8:9]
	s_and_b64 s[12:13], s[2:3], s[12:13]
	v_mul_u64_e32 v[14:15], s[18:19], v[10:11]
	v_mul_u64_e32 v[6:7], s[12:13], v[10:11]
	s_delay_alu instid0(VALU_DEP_3) | instskip(NEXT) | instid1(VALU_DEP_1)
	v_add_nc_u64_e32 v[12:13], v[16:17], v[12:13]
	v_add_co_u32 v3, vcc_lo, v12, v6
	s_delay_alu instid0(VALU_DEP_2) | instskip(SKIP_1) | instid1(VALU_DEP_1)
	v_add_co_ci_u32_e32 v4, vcc_lo, v13, v7, vcc_lo
	v_add_co_ci_u32_e32 v15, vcc_lo, 0, v15, vcc_lo
	v_add_nc_u64_e32 v[4:5], v[4:5], v[14:15]
	s_delay_alu instid0(VALU_DEP_1) | instskip(NEXT) | instid1(VALU_DEP_1)
	v_mul_u64_e32 v[6:7], s[8:9], v[4:5]
	v_sub_nc_u32_e32 v3, v10, v7
	s_delay_alu instid0(VALU_DEP_2) | instskip(NEXT) | instid1(VALU_DEP_1)
	v_sub_co_u32 v6, vcc_lo, v8, v6
	v_sub_co_ci_u32_e64 v10, null, v10, v7, vcc_lo
	s_delay_alu instid0(VALU_DEP_3) | instskip(NEXT) | instid1(VALU_DEP_3)
	v_subrev_co_ci_u32_e64 v3, null, s9, v3, vcc_lo
	v_sub_co_u32 v8, s2, v6, s8
	s_delay_alu instid0(VALU_DEP_1) | instskip(NEXT) | instid1(VALU_DEP_2)
	v_subrev_co_ci_u32_e64 v3, null, 0, v3, s2
	v_cmp_le_u32_e32 vcc_lo, s8, v8
	v_cndmask_b32_e64 v7, 0, -1, vcc_lo
	s_delay_alu instid0(VALU_DEP_3)
	v_cmp_le_u32_e32 vcc_lo, s9, v3
	v_cndmask_b32_e64 v8, 0, -1, vcc_lo
	v_cmp_le_u32_e32 vcc_lo, s8, v6
	v_cndmask_b32_e64 v11, 0, -1, vcc_lo
	;; [unrolled: 2-line block ×3, first 2 shown]
	v_cmp_eq_u32_e32 vcc_lo, s9, v3
	v_cndmask_b32_e32 v3, v8, v7, vcc_lo
	v_cmp_eq_u32_e32 vcc_lo, s9, v10
	v_add_nc_u64_e32 v[6:7], 2, v[4:5]
	v_add_nc_u64_e32 v[8:9], 1, v[4:5]
	v_cndmask_b32_e32 v10, v12, v11, vcc_lo
	v_cmp_ne_u32_e32 vcc_lo, 0, v3
	s_delay_alu instid0(VALU_DEP_2) | instskip(NEXT) | instid1(VALU_DEP_4)
	v_cmp_ne_u32_e64 s2, 0, v10
	v_dual_cndmask_b32 v6, v8, v6 :: v_dual_cndmask_b32 v3, v9, v7
	s_delay_alu instid0(VALU_DEP_1) | instskip(NEXT) | instid1(VALU_DEP_1)
	v_dual_cndmask_b32 v4, v4, v6, s2 :: v_dual_cndmask_b32 v5, v5, v3, s2
	v_dual_mov_b32 v3, v2 :: v_dual_bitop2_b32 v4, v4, v2 bitop3:0x14
	s_delay_alu instid0(VALU_DEP_2) | instskip(NEXT) | instid1(VALU_DEP_1)
	v_xor_b32_e32 v5, v5, v2
	v_sub_nc_u64_e32 v[2:3], v[4:5], v[2:3]
.LBB5_3:
	s_and_not1_saveexec_b32 s2, s10
	s_cbranch_execz .LBB5_5
; %bb.4:
	v_cvt_f32_u32_e32 v2, s6
	s_sub_co_i32 s4, 0, s6
	s_delay_alu instid0(VALU_DEP_1) | instskip(SKIP_1) | instid1(TRANS32_DEP_1)
	v_rcp_iflag_f32_e32 v2, v2
	v_nop
	v_mul_f32_e32 v2, 0x4f7ffffe, v2
	s_delay_alu instid0(VALU_DEP_1) | instskip(NEXT) | instid1(VALU_DEP_1)
	v_cvt_u32_f32_e32 v2, v2
	v_mul_lo_u32 v3, s4, v2
	s_delay_alu instid0(VALU_DEP_1) | instskip(NEXT) | instid1(VALU_DEP_1)
	v_mul_hi_u32 v3, v2, v3
	v_add_nc_u32_e32 v2, v2, v3
	s_delay_alu instid0(VALU_DEP_1) | instskip(NEXT) | instid1(VALU_DEP_1)
	v_mul_hi_u32 v2, v0, v2
	v_mul_lo_u32 v3, v2, s6
	s_delay_alu instid0(VALU_DEP_1) | instskip(NEXT) | instid1(VALU_DEP_1)
	v_dual_add_nc_u32 v4, 1, v2 :: v_dual_sub_nc_u32 v3, v0, v3
	v_subrev_nc_u32_e32 v5, s6, v3
	v_cmp_le_u32_e32 vcc_lo, s6, v3
	s_delay_alu instid0(VALU_DEP_2) | instskip(NEXT) | instid1(VALU_DEP_1)
	v_dual_cndmask_b32 v3, v3, v5 :: v_dual_cndmask_b32 v2, v2, v4
	v_cmp_le_u32_e32 vcc_lo, s6, v3
	s_delay_alu instid0(VALU_DEP_2) | instskip(NEXT) | instid1(VALU_DEP_1)
	v_dual_mov_b32 v3, 0 :: v_dual_add_nc_u32 v4, 1, v2
	v_cndmask_b32_e32 v2, v2, v4, vcc_lo
.LBB5_5:
	s_or_b32 exec_lo, exec_lo, s2
	s_delay_alu instid0(VALU_DEP_1)
	v_mul_u64_e32 v[4:5], s[6:7], v[2:3]
	s_clause 0x1
	s_load_b128 s[20:23], s[0:1], 0x90
	s_load_b256 s[4:11], s[0:1], 0x18
	s_wait_kmcnt 0x0
	s_bfe_u32 s5, ttmp6, 0x40014
	s_bfe_u32 s13, ttmp6, 0x40010
	s_lshr_b32 s2, ttmp7, 16
	s_and_b32 s12, ttmp7, 0xffff
	s_add_co_i32 s5, s5, 1
	s_add_co_i32 s13, s13, 1
	s_bfe_u32 s7, ttmp6, 0x40008
	s_bfe_u32 s14, ttmp6, 0x40004
	s_mul_i32 s5, s2, s5
	s_mul_i32 s13, s12, s13
	s_add_co_i32 s7, s7, s5
	s_add_co_i32 s14, s14, s13
	s_cmp_eq_u32 s3, 0
	s_load_b128 s[24:27], s[0:1], 0x38
	s_cselect_b32 s5, s12, s14
	s_cselect_b32 s7, s2, s7
	s_sub_co_i32 s3, 0, s20
	s_add_co_i32 s4, s20, s4
	s_sub_co_i32 s2, 0, s21
	s_add_co_i32 s4, s4, -1
	s_max_i32 s12, s20, 0
	v_maxmin_i32 v3, s20, v2, s4
	s_max_i32 s3, s3, 0
	s_add_co_i32 s4, s21, s6
	s_max_i32 s28, s21, 0
	s_sub_co_i32 s3, s3, s12
	s_add_co_i32 s4, s4, -1
	s_max_i32 s2, s2, 0
	v_sub_nc_u64_e32 v[0:1], v[0:1], v[4:5]
	s_sub_co_i32 s2, s2, s28
	v_add_nc_u32_e32 v4, s3, v3
	s_load_b256 s[12:19], s[0:1], 0x70
	s_add_co_i32 s6, s22, s5
	s_delay_alu instid0(VALU_DEP_2)
	v_maxmin_i32 v3, s21, v0, s4
	s_add_co_i32 s4, s23, s7
	s_ashr_i32 s7, s6, 31
	s_ashr_i32 s5, s4, 31
	s_mul_u64 s[10:11], s[10:11], s[6:7]
	v_dual_add_nc_u32 v6, s2, v3 :: v_dual_ashrrev_i32 v5, 31, v4
	s_load_b64 s[2:3], s[0:1], 0x0
	s_mul_u64 s[8:9], s[8:9], s[4:5]
	s_lshl_b64 s[10:11], s[10:11], 1
	s_delay_alu instid0(VALU_DEP_1)
	v_ashrrev_i32_e32 v7, 31, v6
	s_wait_kmcnt 0x0
	v_mul_u64_e32 v[4:5], s[24:25], v[4:5]
	s_lshl_b64 s[8:9], s[8:9], 1
	s_load_b64 s[0:1], s[0:1], 0x48
	v_mul_u64_e32 v[6:7], s[26:27], v[6:7]
	v_mul_u64_e32 v[0:1], s[18:19], v[0:1]
	s_add_nc_u64 s[2:3], s[2:3], s[8:9]
	s_delay_alu instid0(SALU_CYCLE_1)
	s_add_nc_u64 s[2:3], s[2:3], s[10:11]
	s_delay_alu instid0(VALU_DEP_3) | instid1(SALU_CYCLE_1)
	v_lshl_add_u64 v[4:5], v[4:5], 1, s[2:3]
	s_mul_u64 s[2:3], s[12:13], s[4:5]
	s_mul_u64 s[4:5], s[14:15], s[6:7]
	s_lshl_b64 s[2:3], s[2:3], 1
	s_lshl_b64 s[4:5], s[4:5], 1
	s_delay_alu instid0(VALU_DEP_3) | instskip(SKIP_3) | instid1(VALU_DEP_2)
	v_lshl_add_u64 v[4:5], v[6:7], 1, v[4:5]
	v_dual_ashrrev_i32 v3, 31, v2 :: v_dual_mov_b32 v7, 0
	s_wait_kmcnt 0x0
	s_add_nc_u64 s[0:1], s[0:1], s[2:3]
	v_and_b32_e32 v6, 2, v4
	s_delay_alu instid0(VALU_DEP_2) | instskip(SKIP_1) | instid1(VALU_DEP_2)
	v_mul_u64_e32 v[2:3], s[16:17], v[2:3]
	s_add_nc_u64 s[0:1], s[0:1], s[4:5]
	v_sub_nc_u64_e32 v[8:9], 0, v[6:7]
	s_delay_alu instid0(VALU_DEP_2) | instskip(SKIP_1) | instid1(VALU_DEP_1)
	v_lshl_add_u64 v[2:3], v[2:3], 1, s[0:1]
	s_mov_b32 s1, 0
	v_lshl_add_u64 v[10:11], v[0:1], 1, v[2:3]
	s_delay_alu instid0(VALU_DEP_3)
	v_add_nc_u64_e32 v[0:1], v[4:5], v[8:9]
	global_load_u16 v2, v[10:11], off
	global_load_b32 v3, v[0:1], off
	s_wait_loadcnt 0x1
	v_lshlrev_b32_e32 v4, 16, v2
	v_cmp_eq_u64_e32 vcc_lo, 0, v[6:7]
.LBB5_6:                                ; =>This Inner Loop Header: Depth=1
	s_wait_loadcnt 0x0
	v_lshrrev_b32_e32 v2, 16, v3
	v_and_b32_e32 v5, 0xffff, v3
	s_delay_alu instid0(VALU_DEP_1) | instskip(NEXT) | instid1(VALU_DEP_1)
	v_cndmask_b32_e32 v2, v2, v5, vcc_lo
	v_lshlrev_b32_e32 v2, 16, v2
	s_delay_alu instid0(VALU_DEP_1) | instskip(NEXT) | instid1(VALU_DEP_1)
	v_add_f32_e32 v2, v4, v2
	v_bfe_u32 v6, v2, 16, 1
	v_cmp_o_f32_e64 s0, v2, v2
	s_delay_alu instid0(VALU_DEP_2) | instskip(NEXT) | instid1(VALU_DEP_1)
	v_add3_u32 v6, v2, v6, 0x7fff
	v_lshrrev_b32_e32 v6, 16, v6
	s_delay_alu instid0(VALU_DEP_1) | instskip(NEXT) | instid1(VALU_DEP_1)
	v_cndmask_b32_e64 v2, 0x7fc0, v6, s0
	v_lshl_or_b32 v5, v2, 16, v5
	v_and_or_b32 v2, 0xffff0000, v3, v2
	s_delay_alu instid0(VALU_DEP_1)
	v_cndmask_b32_e32 v2, v5, v2, vcc_lo
	global_atomic_cmpswap_b32 v2, v[0:1], v[2:3], off th:TH_ATOMIC_RETURN scope:SCOPE_DEV
	s_wait_loadcnt 0x0
	v_cmp_eq_u32_e64 s0, v3, v2
	v_mov_b32_e32 v3, v2
	s_or_b32 s1, s0, s1
	s_delay_alu instid0(SALU_CYCLE_1)
	s_and_not1_b32 exec_lo, exec_lo, s1
	s_cbranch_execnz .LBB5_6
.LBB5_7:
	s_endpgm
	.section	.rodata,"a",@progbits
	.p2align	6, 0x0
	.amdhsa_kernel _ZN2at6native12_GLOBAL__N_131replication_pad_backward_kernelIN3c108BFloat16EEEvN5torch10headeronly6detail27GenericPackedTensorAccessorINS7_14TensorAccessorINS3_8ArrayRefIlEET_Lm3ENS6_16DefaultPtrTraitsElEENS_6detail16IndexBoundsCheckILm4ElEESC_Lm4ESD_lEENS8_INS9_ISB_KSC_Lm3ESD_lEESH_SJ_Lm4ESD_lEEiiii
		.amdhsa_group_segment_fixed_size 0
		.amdhsa_private_segment_fixed_size 0
		.amdhsa_kernarg_size 416
		.amdhsa_user_sgpr_count 2
		.amdhsa_user_sgpr_dispatch_ptr 0
		.amdhsa_user_sgpr_queue_ptr 0
		.amdhsa_user_sgpr_kernarg_segment_ptr 1
		.amdhsa_user_sgpr_dispatch_id 0
		.amdhsa_user_sgpr_kernarg_preload_length 0
		.amdhsa_user_sgpr_kernarg_preload_offset 0
		.amdhsa_user_sgpr_private_segment_size 0
		.amdhsa_wavefront_size32 1
		.amdhsa_uses_dynamic_stack 0
		.amdhsa_enable_private_segment 0
		.amdhsa_system_sgpr_workgroup_id_x 1
		.amdhsa_system_sgpr_workgroup_id_y 1
		.amdhsa_system_sgpr_workgroup_id_z 1
		.amdhsa_system_sgpr_workgroup_info 0
		.amdhsa_system_vgpr_workitem_id 0
		.amdhsa_next_free_vgpr 18
		.amdhsa_next_free_sgpr 29
		.amdhsa_named_barrier_count 0
		.amdhsa_reserve_vcc 1
		.amdhsa_float_round_mode_32 0
		.amdhsa_float_round_mode_16_64 0
		.amdhsa_float_denorm_mode_32 3
		.amdhsa_float_denorm_mode_16_64 3
		.amdhsa_fp16_overflow 0
		.amdhsa_memory_ordered 1
		.amdhsa_forward_progress 1
		.amdhsa_inst_pref_size 12
		.amdhsa_round_robin_scheduling 0
		.amdhsa_exception_fp_ieee_invalid_op 0
		.amdhsa_exception_fp_denorm_src 0
		.amdhsa_exception_fp_ieee_div_zero 0
		.amdhsa_exception_fp_ieee_overflow 0
		.amdhsa_exception_fp_ieee_underflow 0
		.amdhsa_exception_fp_ieee_inexact 0
		.amdhsa_exception_int_div_zero 0
	.end_amdhsa_kernel
	.section	.text._ZN2at6native12_GLOBAL__N_131replication_pad_backward_kernelIN3c108BFloat16EEEvN5torch10headeronly6detail27GenericPackedTensorAccessorINS7_14TensorAccessorINS3_8ArrayRefIlEET_Lm3ENS6_16DefaultPtrTraitsElEENS_6detail16IndexBoundsCheckILm4ElEESC_Lm4ESD_lEENS8_INS9_ISB_KSC_Lm3ESD_lEESH_SJ_Lm4ESD_lEEiiii,"axG",@progbits,_ZN2at6native12_GLOBAL__N_131replication_pad_backward_kernelIN3c108BFloat16EEEvN5torch10headeronly6detail27GenericPackedTensorAccessorINS7_14TensorAccessorINS3_8ArrayRefIlEET_Lm3ENS6_16DefaultPtrTraitsElEENS_6detail16IndexBoundsCheckILm4ElEESC_Lm4ESD_lEENS8_INS9_ISB_KSC_Lm3ESD_lEESH_SJ_Lm4ESD_lEEiiii,comdat
.Lfunc_end5:
	.size	_ZN2at6native12_GLOBAL__N_131replication_pad_backward_kernelIN3c108BFloat16EEEvN5torch10headeronly6detail27GenericPackedTensorAccessorINS7_14TensorAccessorINS3_8ArrayRefIlEET_Lm3ENS6_16DefaultPtrTraitsElEENS_6detail16IndexBoundsCheckILm4ElEESC_Lm4ESD_lEENS8_INS9_ISB_KSC_Lm3ESD_lEESH_SJ_Lm4ESD_lEEiiii, .Lfunc_end5-_ZN2at6native12_GLOBAL__N_131replication_pad_backward_kernelIN3c108BFloat16EEEvN5torch10headeronly6detail27GenericPackedTensorAccessorINS7_14TensorAccessorINS3_8ArrayRefIlEET_Lm3ENS6_16DefaultPtrTraitsElEENS_6detail16IndexBoundsCheckILm4ElEESC_Lm4ESD_lEENS8_INS9_ISB_KSC_Lm3ESD_lEESH_SJ_Lm4ESD_lEEiiii
                                        ; -- End function
	.set _ZN2at6native12_GLOBAL__N_131replication_pad_backward_kernelIN3c108BFloat16EEEvN5torch10headeronly6detail27GenericPackedTensorAccessorINS7_14TensorAccessorINS3_8ArrayRefIlEET_Lm3ENS6_16DefaultPtrTraitsElEENS_6detail16IndexBoundsCheckILm4ElEESC_Lm4ESD_lEENS8_INS9_ISB_KSC_Lm3ESD_lEESH_SJ_Lm4ESD_lEEiiii.num_vgpr, 18
	.set _ZN2at6native12_GLOBAL__N_131replication_pad_backward_kernelIN3c108BFloat16EEEvN5torch10headeronly6detail27GenericPackedTensorAccessorINS7_14TensorAccessorINS3_8ArrayRefIlEET_Lm3ENS6_16DefaultPtrTraitsElEENS_6detail16IndexBoundsCheckILm4ElEESC_Lm4ESD_lEENS8_INS9_ISB_KSC_Lm3ESD_lEESH_SJ_Lm4ESD_lEEiiii.num_agpr, 0
	.set _ZN2at6native12_GLOBAL__N_131replication_pad_backward_kernelIN3c108BFloat16EEEvN5torch10headeronly6detail27GenericPackedTensorAccessorINS7_14TensorAccessorINS3_8ArrayRefIlEET_Lm3ENS6_16DefaultPtrTraitsElEENS_6detail16IndexBoundsCheckILm4ElEESC_Lm4ESD_lEENS8_INS9_ISB_KSC_Lm3ESD_lEESH_SJ_Lm4ESD_lEEiiii.numbered_sgpr, 29
	.set _ZN2at6native12_GLOBAL__N_131replication_pad_backward_kernelIN3c108BFloat16EEEvN5torch10headeronly6detail27GenericPackedTensorAccessorINS7_14TensorAccessorINS3_8ArrayRefIlEET_Lm3ENS6_16DefaultPtrTraitsElEENS_6detail16IndexBoundsCheckILm4ElEESC_Lm4ESD_lEENS8_INS9_ISB_KSC_Lm3ESD_lEESH_SJ_Lm4ESD_lEEiiii.num_named_barrier, 0
	.set _ZN2at6native12_GLOBAL__N_131replication_pad_backward_kernelIN3c108BFloat16EEEvN5torch10headeronly6detail27GenericPackedTensorAccessorINS7_14TensorAccessorINS3_8ArrayRefIlEET_Lm3ENS6_16DefaultPtrTraitsElEENS_6detail16IndexBoundsCheckILm4ElEESC_Lm4ESD_lEENS8_INS9_ISB_KSC_Lm3ESD_lEESH_SJ_Lm4ESD_lEEiiii.private_seg_size, 0
	.set _ZN2at6native12_GLOBAL__N_131replication_pad_backward_kernelIN3c108BFloat16EEEvN5torch10headeronly6detail27GenericPackedTensorAccessorINS7_14TensorAccessorINS3_8ArrayRefIlEET_Lm3ENS6_16DefaultPtrTraitsElEENS_6detail16IndexBoundsCheckILm4ElEESC_Lm4ESD_lEENS8_INS9_ISB_KSC_Lm3ESD_lEESH_SJ_Lm4ESD_lEEiiii.uses_vcc, 1
	.set _ZN2at6native12_GLOBAL__N_131replication_pad_backward_kernelIN3c108BFloat16EEEvN5torch10headeronly6detail27GenericPackedTensorAccessorINS7_14TensorAccessorINS3_8ArrayRefIlEET_Lm3ENS6_16DefaultPtrTraitsElEENS_6detail16IndexBoundsCheckILm4ElEESC_Lm4ESD_lEENS8_INS9_ISB_KSC_Lm3ESD_lEESH_SJ_Lm4ESD_lEEiiii.uses_flat_scratch, 0
	.set _ZN2at6native12_GLOBAL__N_131replication_pad_backward_kernelIN3c108BFloat16EEEvN5torch10headeronly6detail27GenericPackedTensorAccessorINS7_14TensorAccessorINS3_8ArrayRefIlEET_Lm3ENS6_16DefaultPtrTraitsElEENS_6detail16IndexBoundsCheckILm4ElEESC_Lm4ESD_lEENS8_INS9_ISB_KSC_Lm3ESD_lEESH_SJ_Lm4ESD_lEEiiii.has_dyn_sized_stack, 0
	.set _ZN2at6native12_GLOBAL__N_131replication_pad_backward_kernelIN3c108BFloat16EEEvN5torch10headeronly6detail27GenericPackedTensorAccessorINS7_14TensorAccessorINS3_8ArrayRefIlEET_Lm3ENS6_16DefaultPtrTraitsElEENS_6detail16IndexBoundsCheckILm4ElEESC_Lm4ESD_lEENS8_INS9_ISB_KSC_Lm3ESD_lEESH_SJ_Lm4ESD_lEEiiii.has_recursion, 0
	.set _ZN2at6native12_GLOBAL__N_131replication_pad_backward_kernelIN3c108BFloat16EEEvN5torch10headeronly6detail27GenericPackedTensorAccessorINS7_14TensorAccessorINS3_8ArrayRefIlEET_Lm3ENS6_16DefaultPtrTraitsElEENS_6detail16IndexBoundsCheckILm4ElEESC_Lm4ESD_lEENS8_INS9_ISB_KSC_Lm3ESD_lEESH_SJ_Lm4ESD_lEEiiii.has_indirect_call, 0
	.section	.AMDGPU.csdata,"",@progbits
; Kernel info:
; codeLenInByte = 1464
; TotalNumSgprs: 31
; NumVgprs: 18
; ScratchSize: 0
; MemoryBound: 0
; FloatMode: 240
; IeeeMode: 1
; LDSByteSize: 0 bytes/workgroup (compile time only)
; SGPRBlocks: 0
; VGPRBlocks: 1
; NumSGPRsForWavesPerEU: 31
; NumVGPRsForWavesPerEU: 18
; NamedBarCnt: 0
; Occupancy: 16
; WaveLimiterHint : 1
; COMPUTE_PGM_RSRC2:SCRATCH_EN: 0
; COMPUTE_PGM_RSRC2:USER_SGPR: 2
; COMPUTE_PGM_RSRC2:TRAP_HANDLER: 0
; COMPUTE_PGM_RSRC2:TGID_X_EN: 1
; COMPUTE_PGM_RSRC2:TGID_Y_EN: 1
; COMPUTE_PGM_RSRC2:TGID_Z_EN: 1
; COMPUTE_PGM_RSRC2:TIDIG_COMP_CNT: 0
	.section	.text._ZN2at6native12_GLOBAL__N_131replication_pad_backward_kernelIdEEvN5torch10headeronly6detail27GenericPackedTensorAccessorINS5_14TensorAccessorIN3c108ArrayRefIlEET_Lm4ENS4_16DefaultPtrTraitsElEENS_6detail16IndexBoundsCheckILm5ElEESB_Lm5ESC_lEENS6_INS7_ISA_KSB_Lm4ESC_lEESG_SI_Lm5ESC_lEEiiiii,"axG",@progbits,_ZN2at6native12_GLOBAL__N_131replication_pad_backward_kernelIdEEvN5torch10headeronly6detail27GenericPackedTensorAccessorINS5_14TensorAccessorIN3c108ArrayRefIlEET_Lm4ENS4_16DefaultPtrTraitsElEENS_6detail16IndexBoundsCheckILm5ElEESB_Lm5ESC_lEENS6_INS7_ISA_KSB_Lm4ESC_lEESG_SI_Lm5ESC_lEEiiiii,comdat
	.globl	_ZN2at6native12_GLOBAL__N_131replication_pad_backward_kernelIdEEvN5torch10headeronly6detail27GenericPackedTensorAccessorINS5_14TensorAccessorIN3c108ArrayRefIlEET_Lm4ENS4_16DefaultPtrTraitsElEENS_6detail16IndexBoundsCheckILm5ElEESB_Lm5ESC_lEENS6_INS7_ISA_KSB_Lm4ESC_lEESG_SI_Lm5ESC_lEEiiiii ; -- Begin function _ZN2at6native12_GLOBAL__N_131replication_pad_backward_kernelIdEEvN5torch10headeronly6detail27GenericPackedTensorAccessorINS5_14TensorAccessorIN3c108ArrayRefIlEET_Lm4ENS4_16DefaultPtrTraitsElEENS_6detail16IndexBoundsCheckILm5ElEESB_Lm5ESC_lEENS6_INS7_ISA_KSB_Lm4ESC_lEESG_SI_Lm5ESC_lEEiiiii
	.p2align	8
	.type	_ZN2at6native12_GLOBAL__N_131replication_pad_backward_kernelIdEEvN5torch10headeronly6detail27GenericPackedTensorAccessorINS5_14TensorAccessorIN3c108ArrayRefIlEET_Lm4ENS4_16DefaultPtrTraitsElEENS_6detail16IndexBoundsCheckILm5ElEESB_Lm5ESC_lEENS6_INS7_ISA_KSB_Lm4ESC_lEESG_SI_Lm5ESC_lEEiiiii,@function
_ZN2at6native12_GLOBAL__N_131replication_pad_backward_kernelIdEEvN5torch10headeronly6detail27GenericPackedTensorAccessorINS5_14TensorAccessorIN3c108ArrayRefIlEET_Lm4ENS4_16DefaultPtrTraitsElEENS_6detail16IndexBoundsCheckILm5ElEESB_Lm5ESC_lEENS6_INS7_ISA_KSB_Lm4ESC_lEESG_SI_Lm5ESC_lEEiiiii: ; @_ZN2at6native12_GLOBAL__N_131replication_pad_backward_kernelIdEEvN5torch10headeronly6detail27GenericPackedTensorAccessorINS5_14TensorAccessorIN3c108ArrayRefIlEET_Lm4ENS4_16DefaultPtrTraitsElEENS_6detail16IndexBoundsCheckILm5ElEESB_Lm5ESC_lEENS6_INS7_ISA_KSB_Lm4ESC_lEESG_SI_Lm5ESC_lEEiiiii
; %bb.0:
	s_load_b32 s2, s[0:1], 0xd4
	s_bfe_u32 s4, ttmp6, 0x4000c
	s_and_b32 s10, ttmp6, 15
	s_add_co_i32 s11, s4, 1
	s_clause 0x1
	s_load_b128 s[4:7], s[0:1], 0x70
	s_load_b64 s[8:9], s[0:1], 0x80
	s_mul_i32 s11, ttmp9, s11
	s_getreg_b32 s3, hwreg(HW_REG_IB_STS2, 6, 4)
	s_add_co_i32 s10, s10, s11
	s_wait_kmcnt 0x0
	s_and_b32 s2, s2, 0xffff
	s_cmp_eq_u32 s3, 0
	s_cselect_b32 s10, ttmp9, s10
	s_delay_alu instid0(SALU_CYCLE_1) | instskip(SKIP_3) | instid1(VALU_DEP_1)
	v_mad_u32 v0, s10, s2, v0
	s_mul_u64 s[10:11], s[8:9], s[6:7]
	s_mov_b32 s2, exec_lo
	s_mul_u64 s[4:5], s[10:11], s[4:5]
	v_ashrrev_i32_e32 v1, 31, v0
	s_delay_alu instid0(VALU_DEP_1)
	v_cmpx_gt_i64_e64 s[4:5], v[0:1]
	s_cbranch_execz .LBB6_14
; %bb.1:
	v_dual_mov_b32 v6, 0 :: v_dual_bitop2_b32 v7, s9, v1 bitop3:0x54
	v_ashrrev_i32_e32 v2, 31, v1
                                        ; implicit-def: $vgpr4_vgpr5
	s_mov_b32 s2, exec_lo
	s_delay_alu instid0(VALU_DEP_2)
	v_cmpx_ne_u64_e32 0, v[6:7]
	s_xor_b32 s14, exec_lo, s2
	s_cbranch_execz .LBB6_3
; %bb.2:
	s_ashr_i32 s4, s9, 31
	s_mov_b32 s23, 0
	s_mov_b32 s5, s4
	v_dual_mov_b32 v3, v2 :: v_dual_mov_b32 v9, v6
	s_add_nc_u64 s[12:13], s[8:9], s[4:5]
	v_mov_b32_e32 v7, v6
	s_xor_b64 s[12:13], s[12:13], s[4:5]
	s_delay_alu instid0(VALU_DEP_2) | instskip(SKIP_4) | instid1(SALU_CYCLE_1)
	v_add_nc_u64_e32 v[4:5], v[0:1], v[2:3]
	s_cvt_f32_u32 s2, s12
	s_cvt_f32_u32 s5, s13
	s_sub_nc_u64 s[18:19], 0, s[12:13]
	v_dual_mov_b32 v11, v6 :: v_dual_mov_b32 v17, v6
	s_fmamk_f32 s2, s5, 0x4f800000, s2
	s_delay_alu instid0(VALU_DEP_2) | instskip(SKIP_1) | instid1(SALU_CYCLE_1)
	v_xor_b32_e32 v8, v4, v2
	v_xor_b32_e32 v10, v5, v2
	v_s_rcp_f32 s2, s2
	s_delay_alu instid0(TRANS32_DEP_1) | instskip(NEXT) | instid1(SALU_CYCLE_3)
	s_mul_f32 s2, s2, 0x5f7ffffc
	s_mul_f32 s5, s2, 0x2f800000
	s_delay_alu instid0(SALU_CYCLE_3) | instskip(NEXT) | instid1(SALU_CYCLE_3)
	s_trunc_f32 s5, s5
	s_fmamk_f32 s2, s5, 0xcf800000, s2
	s_cvt_u32_f32 s17, s5
	s_delay_alu instid0(SALU_CYCLE_2) | instskip(NEXT) | instid1(SALU_CYCLE_3)
	s_cvt_u32_f32 s16, s2
	s_mul_u64 s[20:21], s[18:19], s[16:17]
	s_delay_alu instid0(SALU_CYCLE_1)
	s_mul_hi_u32 s25, s16, s21
	s_mul_i32 s24, s16, s21
	s_mul_hi_u32 s22, s16, s20
	s_mul_i32 s5, s17, s20
	s_add_nc_u64 s[24:25], s[22:23], s[24:25]
	s_mul_hi_u32 s2, s17, s20
	s_mul_hi_u32 s15, s17, s21
	s_add_co_u32 s5, s24, s5
	s_add_co_ci_u32 s22, s25, s2
	s_mul_i32 s20, s17, s21
	s_add_co_ci_u32 s21, s15, 0
	s_delay_alu instid0(SALU_CYCLE_1) | instskip(NEXT) | instid1(SALU_CYCLE_1)
	s_add_nc_u64 s[20:21], s[22:23], s[20:21]
	s_add_co_u32 s16, s16, s20
	s_cselect_b32 s2, -1, 0
	s_delay_alu instid0(SALU_CYCLE_1) | instskip(SKIP_1) | instid1(SALU_CYCLE_1)
	s_cmp_lg_u32 s2, 0
	s_add_co_ci_u32 s17, s17, s21
	s_mul_u64 s[18:19], s[18:19], s[16:17]
	s_delay_alu instid0(SALU_CYCLE_1)
	s_mul_hi_u32 s21, s16, s19
	s_mul_i32 s20, s16, s19
	s_mul_hi_u32 s22, s16, s18
	s_mul_i32 s5, s17, s18
	s_add_nc_u64 s[20:21], s[22:23], s[20:21]
	s_mul_hi_u32 s2, s17, s18
	s_mul_hi_u32 s15, s17, s19
	s_add_co_u32 s5, s20, s5
	s_add_co_ci_u32 s22, s21, s2
	s_mul_i32 s18, s17, s19
	s_add_co_ci_u32 s19, s15, 0
	s_delay_alu instid0(SALU_CYCLE_1) | instskip(NEXT) | instid1(SALU_CYCLE_1)
	s_add_nc_u64 s[18:19], s[22:23], s[18:19]
	s_add_co_u32 s2, s16, s18
	s_cselect_b32 s5, -1, 0
	v_nop
	v_mul_hi_u32 v16, v8, s2
	s_cmp_lg_u32 s5, 0
	s_add_co_ci_u32 s22, s17, s19
	s_mov_b64 s[16:17], 0xffffffff
	v_mul_u64_e32 v[12:13], s[22:23], v[8:9]
	s_and_b64 s[16:17], s[2:3], s[16:17]
	v_mul_u64_e32 v[14:15], s[22:23], v[10:11]
	v_mul_u64_e32 v[4:5], s[16:17], v[10:11]
	s_delay_alu instid0(VALU_DEP_3) | instskip(NEXT) | instid1(VALU_DEP_1)
	v_add_nc_u64_e32 v[12:13], v[16:17], v[12:13]
	v_add_co_u32 v3, vcc_lo, v12, v4
	s_delay_alu instid0(VALU_DEP_2) | instskip(SKIP_1) | instid1(VALU_DEP_1)
	v_add_co_ci_u32_e32 v6, vcc_lo, v13, v5, vcc_lo
	v_add_co_ci_u32_e32 v15, vcc_lo, 0, v15, vcc_lo
	v_add_nc_u64_e32 v[4:5], v[6:7], v[14:15]
	s_delay_alu instid0(VALU_DEP_1) | instskip(NEXT) | instid1(VALU_DEP_1)
	v_mul_u64_e32 v[6:7], s[12:13], v[4:5]
	v_sub_nc_u32_e32 v3, v10, v7
	s_delay_alu instid0(VALU_DEP_2) | instskip(NEXT) | instid1(VALU_DEP_1)
	v_sub_co_u32 v6, vcc_lo, v8, v6
	v_sub_co_ci_u32_e64 v10, null, v10, v7, vcc_lo
	s_delay_alu instid0(VALU_DEP_3) | instskip(NEXT) | instid1(VALU_DEP_3)
	v_subrev_co_ci_u32_e64 v3, null, s13, v3, vcc_lo
	v_sub_co_u32 v8, s2, v6, s12
	s_delay_alu instid0(VALU_DEP_1) | instskip(NEXT) | instid1(VALU_DEP_2)
	v_subrev_co_ci_u32_e64 v3, null, 0, v3, s2
	v_cmp_le_u32_e32 vcc_lo, s12, v8
	v_cndmask_b32_e64 v7, 0, -1, vcc_lo
	s_delay_alu instid0(VALU_DEP_3)
	v_cmp_le_u32_e32 vcc_lo, s13, v3
	v_cndmask_b32_e64 v8, 0, -1, vcc_lo
	v_cmp_le_u32_e32 vcc_lo, s12, v6
	v_cndmask_b32_e64 v11, 0, -1, vcc_lo
	;; [unrolled: 2-line block ×3, first 2 shown]
	v_cmp_eq_u32_e32 vcc_lo, s13, v3
	v_cndmask_b32_e32 v3, v8, v7, vcc_lo
	v_cmp_eq_u32_e32 vcc_lo, s13, v10
	v_add_nc_u64_e32 v[6:7], 2, v[4:5]
	v_add_nc_u64_e32 v[8:9], 1, v[4:5]
	v_cndmask_b32_e32 v10, v12, v11, vcc_lo
	v_cmp_ne_u32_e32 vcc_lo, 0, v3
	s_delay_alu instid0(VALU_DEP_2) | instskip(NEXT) | instid1(VALU_DEP_4)
	v_cmp_ne_u32_e64 s2, 0, v10
	v_dual_cndmask_b32 v3, v9, v7, vcc_lo :: v_dual_cndmask_b32 v7, v8, v6, vcc_lo
	s_delay_alu instid0(VALU_DEP_1) | instskip(NEXT) | instid1(VALU_DEP_1)
	v_dual_cndmask_b32 v4, v4, v7, s2 :: v_dual_bitop2_b32 v6, s4, v2 bitop3:0x14
	v_dual_cndmask_b32 v3, v5, v3, s2 :: v_dual_mov_b32 v7, v6
	s_delay_alu instid0(VALU_DEP_2) | instskip(NEXT) | instid1(VALU_DEP_2)
	v_xor_b32_e32 v4, v4, v6
	v_xor_b32_e32 v5, v3, v6
	s_delay_alu instid0(VALU_DEP_1)
	v_sub_nc_u64_e32 v[4:5], v[4:5], v[6:7]
.LBB6_3:
	s_and_not1_saveexec_b32 s2, s14
	s_cbranch_execz .LBB6_5
; %bb.4:
	v_cvt_f32_u32_e32 v3, s8
	s_sub_co_i32 s4, 0, s8
	s_delay_alu instid0(VALU_DEP_1) | instskip(SKIP_1) | instid1(TRANS32_DEP_1)
	v_rcp_iflag_f32_e32 v3, v3
	v_nop
	v_mul_f32_e32 v3, 0x4f7ffffe, v3
	s_delay_alu instid0(VALU_DEP_1) | instskip(NEXT) | instid1(VALU_DEP_1)
	v_cvt_u32_f32_e32 v3, v3
	v_mul_lo_u32 v4, s4, v3
	s_delay_alu instid0(VALU_DEP_1) | instskip(NEXT) | instid1(VALU_DEP_1)
	v_mul_hi_u32 v4, v3, v4
	v_add_nc_u32_e32 v3, v3, v4
	s_delay_alu instid0(VALU_DEP_1) | instskip(NEXT) | instid1(VALU_DEP_1)
	v_mul_hi_u32 v3, v0, v3
	v_mul_lo_u32 v4, v3, s8
	s_delay_alu instid0(VALU_DEP_1) | instskip(NEXT) | instid1(VALU_DEP_1)
	v_dual_add_nc_u32 v5, 1, v3 :: v_dual_sub_nc_u32 v4, v0, v4
	v_subrev_nc_u32_e32 v6, s8, v4
	v_cmp_le_u32_e32 vcc_lo, s8, v4
	s_delay_alu instid0(VALU_DEP_2) | instskip(NEXT) | instid1(VALU_DEP_1)
	v_dual_cndmask_b32 v4, v4, v6 :: v_dual_cndmask_b32 v3, v3, v5
	v_cmp_le_u32_e32 vcc_lo, s8, v4
	s_delay_alu instid0(VALU_DEP_2) | instskip(NEXT) | instid1(VALU_DEP_1)
	v_add_nc_u32_e32 v5, 1, v3
	v_dual_cndmask_b32 v4, v3, v5 :: v_dual_mov_b32 v5, 0
.LBB6_5:
	s_or_b32 exec_lo, exec_lo, s2
	s_delay_alu instid0(VALU_DEP_1) | instskip(SKIP_1) | instid1(VALU_DEP_1)
	v_dual_mov_b32 v8, 0 :: v_dual_bitop2_b32 v9, s7, v5 bitop3:0x54
                                        ; implicit-def: $vgpr6_vgpr7
	s_mov_b32 s2, exec_lo
	v_cmpx_ne_u64_e32 0, v[8:9]
	s_xor_b32 s12, exec_lo, s2
	s_cbranch_execz .LBB6_7
; %bb.6:
	s_ashr_i32 s4, s7, 31
	s_mov_b32 s21, 0
	s_mov_b32 s5, s4
	v_dual_mov_b32 v13, v8 :: v_dual_ashrrev_i32 v6, 31, v5
	s_add_nc_u64 s[14:15], s[6:7], s[4:5]
	v_mov_b32_e32 v15, v8
	s_xor_b64 s[4:5], s[14:15], s[4:5]
	s_delay_alu instid0(VALU_DEP_2)
	v_mov_b32_e32 v7, v6
	s_cvt_f32_u32 s2, s4
	s_cvt_f32_u32 s7, s5
	s_sub_nc_u64 s[16:17], 0, s[4:5]
	v_mov_b32_e32 v21, v8
	v_add_nc_u64_e32 v[10:11], v[4:5], v[6:7]
	s_fmamk_f32 s2, s7, 0x4f800000, s2
	v_mov_b32_e32 v9, v8
	s_delay_alu instid0(SALU_CYCLE_2) | instskip(NEXT) | instid1(VALU_DEP_2)
	v_s_rcp_f32 s2, s2
	v_xor_b32_e32 v12, v10, v6
	s_delay_alu instid0(VALU_DEP_3) | instskip(NEXT) | instid1(TRANS32_DEP_1)
	v_xor_b32_e32 v14, v11, v6
	s_mul_f32 s2, s2, 0x5f7ffffc
	s_delay_alu instid0(SALU_CYCLE_3) | instskip(NEXT) | instid1(SALU_CYCLE_3)
	s_mul_f32 s7, s2, 0x2f800000
	s_trunc_f32 s7, s7
	s_delay_alu instid0(SALU_CYCLE_3) | instskip(SKIP_1) | instid1(SALU_CYCLE_2)
	s_fmamk_f32 s2, s7, 0xcf800000, s2
	s_cvt_u32_f32 s15, s7
	s_cvt_u32_f32 s14, s2
	s_delay_alu instid0(SALU_CYCLE_3) | instskip(NEXT) | instid1(SALU_CYCLE_1)
	s_mul_u64 s[18:19], s[16:17], s[14:15]
	s_mul_hi_u32 s23, s14, s19
	s_mul_i32 s22, s14, s19
	s_mul_hi_u32 s20, s14, s18
	s_mul_i32 s7, s15, s18
	s_add_nc_u64 s[22:23], s[20:21], s[22:23]
	s_mul_hi_u32 s2, s15, s18
	s_mul_hi_u32 s13, s15, s19
	s_add_co_u32 s7, s22, s7
	s_add_co_ci_u32 s20, s23, s2
	s_mul_i32 s18, s15, s19
	s_add_co_ci_u32 s19, s13, 0
	s_delay_alu instid0(SALU_CYCLE_1) | instskip(NEXT) | instid1(SALU_CYCLE_1)
	s_add_nc_u64 s[18:19], s[20:21], s[18:19]
	s_add_co_u32 s14, s14, s18
	s_cselect_b32 s2, -1, 0
	s_delay_alu instid0(SALU_CYCLE_1) | instskip(SKIP_1) | instid1(SALU_CYCLE_1)
	s_cmp_lg_u32 s2, 0
	s_add_co_ci_u32 s15, s15, s19
	s_mul_u64 s[16:17], s[16:17], s[14:15]
	s_delay_alu instid0(SALU_CYCLE_1)
	s_mul_hi_u32 s19, s14, s17
	s_mul_i32 s18, s14, s17
	s_mul_hi_u32 s20, s14, s16
	s_mul_i32 s7, s15, s16
	s_add_nc_u64 s[18:19], s[20:21], s[18:19]
	s_mul_hi_u32 s2, s15, s16
	s_mul_hi_u32 s13, s15, s17
	s_add_co_u32 s7, s18, s7
	s_add_co_ci_u32 s20, s19, s2
	s_mul_i32 s16, s15, s17
	s_add_co_ci_u32 s17, s13, 0
	s_delay_alu instid0(SALU_CYCLE_1) | instskip(NEXT) | instid1(SALU_CYCLE_1)
	s_add_nc_u64 s[16:17], s[20:21], s[16:17]
	s_add_co_u32 s2, s14, s16
	s_cselect_b32 s7, -1, 0
	v_mul_hi_u32 v20, v12, s2
	s_cmp_lg_u32 s7, 0
	s_add_co_ci_u32 s20, s15, s17
	s_mov_b64 s[14:15], 0xffffffff
	v_mul_u64_e32 v[16:17], s[20:21], v[12:13]
	s_and_b64 s[14:15], s[2:3], s[14:15]
	v_mul_u64_e32 v[18:19], s[20:21], v[14:15]
	v_mul_u64_e32 v[10:11], s[14:15], v[14:15]
	s_delay_alu instid0(VALU_DEP_3) | instskip(NEXT) | instid1(VALU_DEP_1)
	v_add_nc_u64_e32 v[16:17], v[20:21], v[16:17]
	v_add_co_u32 v3, vcc_lo, v16, v10
	s_delay_alu instid0(VALU_DEP_2) | instskip(SKIP_1) | instid1(VALU_DEP_1)
	v_add_co_ci_u32_e32 v8, vcc_lo, v17, v11, vcc_lo
	v_add_co_ci_u32_e32 v19, vcc_lo, 0, v19, vcc_lo
	v_add_nc_u64_e32 v[8:9], v[8:9], v[18:19]
	s_delay_alu instid0(VALU_DEP_1) | instskip(NEXT) | instid1(VALU_DEP_1)
	v_mul_u64_e32 v[8:9], s[4:5], v[8:9]
	v_sub_co_u32 v8, vcc_lo, v12, v8
	s_delay_alu instid0(VALU_DEP_1) | instskip(NEXT) | instid1(VALU_DEP_1)
	v_cmp_le_u32_e64 s2, s4, v8
	v_cndmask_b32_e64 v12, 0, -1, s2
	s_delay_alu instid0(VALU_DEP_4) | instskip(SKIP_1) | instid1(VALU_DEP_2)
	v_sub_nc_u32_e32 v3, v14, v9
	v_sub_co_ci_u32_e64 v9, null, v14, v9, vcc_lo
	v_subrev_co_ci_u32_e64 v3, null, s5, v3, vcc_lo
	v_sub_co_u32 v10, vcc_lo, v8, s4
	s_delay_alu instid0(VALU_DEP_1) | instskip(NEXT) | instid1(VALU_DEP_2)
	v_subrev_co_ci_u32_e64 v11, null, 0, v3, vcc_lo
	v_cmp_le_u32_e64 s2, s4, v10
	v_subrev_co_ci_u32_e64 v3, null, s5, v3, vcc_lo
	v_cmp_le_u32_e32 vcc_lo, s5, v9
	s_delay_alu instid0(VALU_DEP_3) | instskip(SKIP_3) | instid1(VALU_DEP_3)
	v_cndmask_b32_e64 v13, 0, -1, s2
	v_cmp_le_u32_e64 s2, s5, v11
	v_cndmask_b32_e64 v15, 0, -1, vcc_lo
	v_cmp_eq_u32_e32 vcc_lo, s5, v11
	v_cndmask_b32_e64 v14, 0, -1, s2
	v_cmp_eq_u32_e64 s2, s5, v9
	s_delay_alu instid0(VALU_DEP_2) | instskip(SKIP_1) | instid1(VALU_DEP_1)
	v_cndmask_b32_e32 v13, v14, v13, vcc_lo
	v_sub_co_u32 v14, vcc_lo, v10, s4
	v_subrev_co_ci_u32_e64 v3, null, 0, v3, vcc_lo
	s_delay_alu instid0(VALU_DEP_3) | instskip(SKIP_1) | instid1(VALU_DEP_3)
	v_cmp_ne_u32_e32 vcc_lo, 0, v13
	v_cndmask_b32_e64 v12, v15, v12, s2
	v_dual_cndmask_b32 v3, v11, v3 :: v_dual_cndmask_b32 v10, v10, v14
	s_delay_alu instid0(VALU_DEP_2) | instskip(NEXT) | instid1(VALU_DEP_2)
	v_cmp_ne_u32_e32 vcc_lo, 0, v12
	v_dual_cndmask_b32 v3, v9, v3 :: v_dual_cndmask_b32 v8, v8, v10
	s_delay_alu instid0(VALU_DEP_1) | instskip(NEXT) | instid1(VALU_DEP_2)
	v_xor_b32_e32 v9, v3, v6
	v_xor_b32_e32 v8, v8, v6
	s_delay_alu instid0(VALU_DEP_1)
	v_sub_nc_u64_e32 v[6:7], v[8:9], v[6:7]
.LBB6_7:
	s_and_not1_saveexec_b32 s2, s12
	s_cbranch_execz .LBB6_9
; %bb.8:
	v_cvt_f32_u32_e32 v3, s6
	s_sub_co_i32 s4, 0, s6
	s_delay_alu instid0(VALU_DEP_1) | instskip(SKIP_1) | instid1(TRANS32_DEP_1)
	v_rcp_iflag_f32_e32 v3, v3
	v_nop
	v_mul_f32_e32 v3, 0x4f7ffffe, v3
	s_delay_alu instid0(VALU_DEP_1) | instskip(NEXT) | instid1(VALU_DEP_1)
	v_cvt_u32_f32_e32 v3, v3
	v_mul_lo_u32 v6, s4, v3
	s_delay_alu instid0(VALU_DEP_1) | instskip(NEXT) | instid1(VALU_DEP_1)
	v_mul_hi_u32 v6, v3, v6
	v_add_nc_u32_e32 v3, v3, v6
	s_delay_alu instid0(VALU_DEP_1) | instskip(NEXT) | instid1(VALU_DEP_1)
	v_mul_hi_u32 v3, v4, v3
	v_mul_lo_u32 v3, v3, s6
	s_delay_alu instid0(VALU_DEP_1) | instskip(NEXT) | instid1(VALU_DEP_1)
	v_sub_nc_u32_e32 v3, v4, v3
	v_subrev_nc_u32_e32 v6, s6, v3
	v_cmp_le_u32_e32 vcc_lo, s6, v3
	s_delay_alu instid0(VALU_DEP_2) | instskip(NEXT) | instid1(VALU_DEP_1)
	v_cndmask_b32_e32 v3, v3, v6, vcc_lo
	v_subrev_nc_u32_e32 v6, s6, v3
	v_cmp_le_u32_e32 vcc_lo, s6, v3
	s_delay_alu instid0(VALU_DEP_2)
	v_cndmask_b32_e32 v6, v3, v6, vcc_lo
.LBB6_9:
	s_or_b32 exec_lo, exec_lo, s2
	v_dual_mov_b32 v10, 0 :: v_dual_bitop2_b32 v11, s11, v1 bitop3:0x54
                                        ; implicit-def: $vgpr8_vgpr9
	s_mov_b32 s2, exec_lo
	s_delay_alu instid0(VALU_DEP_1)
	v_cmpx_ne_u64_e32 0, v[10:11]
	s_xor_b32 s12, exec_lo, s2
	s_cbranch_execz .LBB6_11
; %bb.10:
	s_ashr_i32 s4, s11, 31
	s_mov_b32 s21, 0
	s_mov_b32 s5, s4
	v_dual_mov_b32 v3, v2 :: v_dual_mov_b32 v13, v10
	s_add_nc_u64 s[6:7], s[10:11], s[4:5]
	v_mov_b32_e32 v11, v10
	s_xor_b64 s[6:7], s[6:7], s[4:5]
	s_delay_alu instid0(VALU_DEP_2) | instskip(SKIP_4) | instid1(SALU_CYCLE_1)
	v_add_nc_u64_e32 v[8:9], v[0:1], v[2:3]
	s_cvt_f32_u32 s2, s6
	s_cvt_f32_u32 s5, s7
	s_sub_nc_u64 s[16:17], 0, s[6:7]
	v_dual_mov_b32 v15, v10 :: v_dual_mov_b32 v21, v10
	s_fmamk_f32 s2, s5, 0x4f800000, s2
	s_delay_alu instid0(VALU_DEP_2) | instskip(SKIP_3) | instid1(TRANS32_DEP_1)
	v_xor_b32_e32 v12, v8, v2
	v_xor_b32_e32 v14, v9, v2
	v_xor_b32_e32 v2, s4, v2
	v_s_rcp_f32 s2, s2
	s_mul_f32 s2, s2, 0x5f7ffffc
	s_delay_alu instid0(SALU_CYCLE_3) | instskip(NEXT) | instid1(SALU_CYCLE_3)
	s_mul_f32 s5, s2, 0x2f800000
	s_trunc_f32 s5, s5
	s_delay_alu instid0(SALU_CYCLE_3) | instskip(SKIP_1) | instid1(SALU_CYCLE_2)
	s_fmamk_f32 s2, s5, 0xcf800000, s2
	s_cvt_u32_f32 s15, s5
	s_cvt_u32_f32 s14, s2
	s_delay_alu instid0(SALU_CYCLE_3) | instskip(NEXT) | instid1(SALU_CYCLE_1)
	s_mul_u64 s[18:19], s[16:17], s[14:15]
	s_mul_hi_u32 s23, s14, s19
	s_mul_i32 s22, s14, s19
	s_mul_hi_u32 s20, s14, s18
	s_mul_i32 s5, s15, s18
	s_add_nc_u64 s[22:23], s[20:21], s[22:23]
	s_mul_hi_u32 s2, s15, s18
	s_mul_hi_u32 s11, s15, s19
	s_add_co_u32 s5, s22, s5
	s_add_co_ci_u32 s20, s23, s2
	s_mul_i32 s18, s15, s19
	s_add_co_ci_u32 s19, s11, 0
	s_delay_alu instid0(SALU_CYCLE_1) | instskip(NEXT) | instid1(SALU_CYCLE_1)
	s_add_nc_u64 s[18:19], s[20:21], s[18:19]
	s_add_co_u32 s14, s14, s18
	s_cselect_b32 s2, -1, 0
	s_delay_alu instid0(SALU_CYCLE_1) | instskip(SKIP_1) | instid1(SALU_CYCLE_1)
	s_cmp_lg_u32 s2, 0
	s_add_co_ci_u32 s15, s15, s19
	s_mul_u64 s[16:17], s[16:17], s[14:15]
	s_delay_alu instid0(SALU_CYCLE_1)
	s_mul_hi_u32 s19, s14, s17
	s_mul_i32 s18, s14, s17
	s_mul_hi_u32 s20, s14, s16
	s_mul_i32 s5, s15, s16
	s_add_nc_u64 s[18:19], s[20:21], s[18:19]
	s_mul_hi_u32 s2, s15, s16
	s_mul_hi_u32 s11, s15, s17
	s_add_co_u32 s5, s18, s5
	s_add_co_ci_u32 s20, s19, s2
	s_mul_i32 s16, s15, s17
	s_add_co_ci_u32 s17, s11, 0
	s_delay_alu instid0(SALU_CYCLE_1) | instskip(NEXT) | instid1(SALU_CYCLE_1)
	s_add_nc_u64 s[16:17], s[20:21], s[16:17]
	s_add_co_u32 s2, s14, s16
	s_cselect_b32 s5, -1, 0
	v_nop
	v_mul_hi_u32 v20, v12, s2
	s_cmp_lg_u32 s5, 0
	s_add_co_ci_u32 s20, s15, s17
	s_mov_b64 s[14:15], 0xffffffff
	v_mul_u64_e32 v[16:17], s[20:21], v[12:13]
	s_and_b64 s[14:15], s[2:3], s[14:15]
	v_mul_u64_e32 v[18:19], s[20:21], v[14:15]
	v_mul_u64_e32 v[8:9], s[14:15], v[14:15]
	s_delay_alu instid0(VALU_DEP_3) | instskip(NEXT) | instid1(VALU_DEP_1)
	v_add_nc_u64_e32 v[16:17], v[20:21], v[16:17]
	v_add_co_u32 v3, vcc_lo, v16, v8
	s_delay_alu instid0(VALU_DEP_2) | instskip(SKIP_1) | instid1(VALU_DEP_1)
	v_add_co_ci_u32_e32 v10, vcc_lo, v17, v9, vcc_lo
	v_add_co_ci_u32_e32 v19, vcc_lo, 0, v19, vcc_lo
	v_add_nc_u64_e32 v[8:9], v[10:11], v[18:19]
	s_delay_alu instid0(VALU_DEP_1) | instskip(NEXT) | instid1(VALU_DEP_1)
	v_mul_u64_e32 v[10:11], s[6:7], v[8:9]
	v_sub_co_u32 v7, vcc_lo, v12, v10
	v_add_nc_u64_e32 v[12:13], 1, v[8:9]
	s_delay_alu instid0(VALU_DEP_3) | instskip(SKIP_1) | instid1(VALU_DEP_4)
	v_sub_nc_u32_e32 v3, v14, v11
	v_sub_co_ci_u32_e64 v14, null, v14, v11, vcc_lo
	v_sub_co_u32 v10, s2, v7, s6
	s_delay_alu instid0(VALU_DEP_3) | instskip(NEXT) | instid1(VALU_DEP_2)
	v_subrev_co_ci_u32_e64 v3, null, s7, v3, vcc_lo
	v_cmp_le_u32_e32 vcc_lo, s6, v10
	s_delay_alu instid0(VALU_DEP_2) | instskip(SKIP_1) | instid1(VALU_DEP_2)
	v_subrev_co_ci_u32_e64 v3, null, 0, v3, s2
	v_cndmask_b32_e64 v10, 0, -1, vcc_lo
	v_cmp_le_u32_e32 vcc_lo, s7, v3
	v_cndmask_b32_e64 v11, 0, -1, vcc_lo
	v_cmp_le_u32_e32 vcc_lo, s6, v7
	;; [unrolled: 2-line block ×3, first 2 shown]
	v_cndmask_b32_e64 v15, 0, -1, vcc_lo
	v_cmp_eq_u32_e32 vcc_lo, s7, v3
	v_cndmask_b32_e32 v3, v11, v10, vcc_lo
	v_cmp_eq_u32_e32 vcc_lo, s7, v14
	v_add_nc_u64_e32 v[10:11], 2, v[8:9]
	v_cndmask_b32_e32 v7, v15, v7, vcc_lo
	s_delay_alu instid0(VALU_DEP_4) | instskip(NEXT) | instid1(VALU_DEP_2)
	v_cmp_ne_u32_e32 vcc_lo, 0, v3
	v_cmp_ne_u32_e64 s2, 0, v7
	s_delay_alu instid0(VALU_DEP_4) | instskip(NEXT) | instid1(VALU_DEP_1)
	v_dual_cndmask_b32 v3, v13, v11, vcc_lo :: v_dual_cndmask_b32 v7, v12, v10, vcc_lo
	v_dual_cndmask_b32 v9, v9, v3, s2 :: v_dual_mov_b32 v3, v2
	s_delay_alu instid0(VALU_DEP_1) | instskip(NEXT) | instid1(VALU_DEP_1)
	v_dual_cndmask_b32 v7, v8, v7, s2 :: v_dual_bitop2_b32 v9, v9, v2 bitop3:0x14
	v_xor_b32_e32 v8, v7, v2
	s_delay_alu instid0(VALU_DEP_1)
	v_sub_nc_u64_e32 v[8:9], v[8:9], v[2:3]
.LBB6_11:
	s_and_not1_saveexec_b32 s2, s12
	s_cbranch_execz .LBB6_13
; %bb.12:
	v_cvt_f32_u32_e32 v2, s10
	s_sub_co_i32 s4, 0, s10
	s_delay_alu instid0(VALU_DEP_1) | instskip(SKIP_1) | instid1(TRANS32_DEP_1)
	v_rcp_iflag_f32_e32 v2, v2
	v_nop
	v_mul_f32_e32 v2, 0x4f7ffffe, v2
	s_delay_alu instid0(VALU_DEP_1) | instskip(NEXT) | instid1(VALU_DEP_1)
	v_cvt_u32_f32_e32 v2, v2
	v_mul_lo_u32 v3, s4, v2
	s_delay_alu instid0(VALU_DEP_1) | instskip(NEXT) | instid1(VALU_DEP_1)
	v_mul_hi_u32 v3, v2, v3
	v_add_nc_u32_e32 v2, v2, v3
	s_delay_alu instid0(VALU_DEP_1) | instskip(NEXT) | instid1(VALU_DEP_1)
	v_mul_hi_u32 v2, v0, v2
	v_mul_lo_u32 v3, v2, s10
	s_delay_alu instid0(VALU_DEP_1) | instskip(NEXT) | instid1(VALU_DEP_1)
	v_dual_add_nc_u32 v7, 1, v2 :: v_dual_sub_nc_u32 v3, v0, v3
	v_subrev_nc_u32_e32 v8, s10, v3
	v_cmp_le_u32_e32 vcc_lo, s10, v3
	s_delay_alu instid0(VALU_DEP_2) | instskip(NEXT) | instid1(VALU_DEP_1)
	v_dual_cndmask_b32 v3, v3, v8 :: v_dual_cndmask_b32 v2, v2, v7
	v_cmp_le_u32_e32 vcc_lo, s10, v3
	s_delay_alu instid0(VALU_DEP_2) | instskip(NEXT) | instid1(VALU_DEP_1)
	v_add_nc_u32_e32 v7, 1, v2
	v_cndmask_b32_e32 v8, v2, v7, vcc_lo
.LBB6_13:
	s_or_b32 exec_lo, exec_lo, s2
	v_mul_u64_e32 v[2:3], s[8:9], v[4:5]
	s_clause 0x2
	s_load_b256 s[4:11], s[0:1], 0x88
	s_load_b64 s[12:13], s[0:1], 0xa8
	s_load_b128 s[20:23], s[0:1], 0xb0
	v_dual_ashrrev_i32 v9, 31, v8 :: v_dual_ashrrev_i32 v7, 31, v6
	s_load_b32 s2, s[0:1], 0xc0
	s_bfe_u32 s15, ttmp6, 0x40014
	s_lshr_b32 s14, ttmp7, 16
	s_add_co_i32 s15, s15, 1
	s_bfe_u32 s16, ttmp6, 0x40008
	s_mul_i32 s15, s14, s15
	s_delay_alu instid0(SALU_CYCLE_1) | instskip(SKIP_3) | instid1(VALU_DEP_3)
	s_add_co_i32 s16, s16, s15
	s_wait_kmcnt 0x0
	v_mul_u64_e32 v[4:5], s[8:9], v[8:9]
	s_load_b64 s[8:9], s[0:1], 0x58
	v_sub_nc_u64_e32 v[0:1], v[0:1], v[2:3]
	v_mul_u64_e32 v[2:3], s[10:11], v[6:7]
	s_bfe_u32 s10, ttmp6, 0x40010
	s_and_b32 s11, ttmp7, 0xffff
	s_add_co_i32 s10, s10, 1
	s_delay_alu instid0(SALU_CYCLE_1) | instskip(NEXT) | instid1(VALU_DEP_2)
	s_mul_i32 s10, s11, s10
	v_mul_u64_e32 v[10:11], s[12:13], v[0:1]
	s_bfe_u32 s12, ttmp6, 0x40004
	s_delay_alu instid0(SALU_CYCLE_1)
	s_add_co_i32 s12, s12, s10
	s_cmp_eq_u32 s3, 0
	s_cselect_b32 s3, s14, s16
	s_cselect_b32 s10, s11, s12
	s_add_co_i32 s2, s2, s3
	s_add_co_i32 s24, s23, s10
	s_ashr_i32 s3, s2, 31
	s_ashr_i32 s25, s24, 31
	s_mul_u64 s[4:5], s[4:5], s[2:3]
	s_mul_u64 s[6:7], s[6:7], s[24:25]
	s_lshl_b64 s[4:5], s[4:5], 3
	s_lshl_b64 s[6:7], s[6:7], 3
	s_wait_kmcnt 0x0
	s_add_nc_u64 s[4:5], s[8:9], s[4:5]
	s_max_i32 s27, s20, 0
	s_add_nc_u64 s[4:5], s[4:5], s[6:7]
	s_max_i32 s23, s22, 0
	s_delay_alu instid0(VALU_DEP_4)
	v_lshl_add_u64 v[4:5], v[4:5], 3, s[4:5]
	s_load_b512 s[4:19], s[0:1], 0x18
	s_wait_kmcnt 0x0
	s_sub_co_i32 s9, 0, s20
	s_sub_co_i32 s5, 0, s22
	s_max_i32 s9, s9, 0
	s_sub_co_i32 s7, 0, s21
	s_delay_alu instid0(VALU_DEP_3) | instskip(SKIP_4) | instid1(VALU_DEP_3)
	v_lshl_add_u64 v[2:3], v[2:3], 3, v[4:5]
	s_max_i32 s5, s5, 0
	s_max_i32 s7, s7, 0
	;; [unrolled: 1-line block ×3, first 2 shown]
	s_load_b64 s[0:1], s[0:1], 0x0
	v_lshl_add_u64 v[2:3], v[10:11], 3, v[2:3]
	global_load_b64 v[2:3], v[2:3], off
	s_add_co_i32 s4, s20, s4
	s_add_co_i32 s6, s21, s6
	s_add_co_i32 s4, s4, -1
	s_add_co_i32 s6, s6, -1
	v_maxmin_i32 v1, s20, v8, s4
	s_add_co_i32 s4, s22, s8
	s_sub_co_i32 s8, s9, s27
	s_add_co_i32 s4, s4, -1
	v_maxmin_i32 v5, s21, v6, s6
	v_add_nc_u32_e32 v4, s8, v1
	v_maxmin_i32 v1, s22, v0, s4
	s_sub_co_i32 s6, s7, s26
	s_sub_co_i32 s4, s5, s23
	s_mul_u64 s[2:3], s[10:11], s[2:3]
	s_delay_alu instid0(VALU_DEP_1) | instskip(SKIP_3) | instid1(VALU_DEP_1)
	v_add_nc_u32_e32 v6, s4, v1
	v_dual_add_nc_u32 v0, s6, v5 :: v_dual_ashrrev_i32 v5, 31, v4
	s_lshl_b64 s[2:3], s[2:3], 3
	s_mul_u64 s[4:5], s[12:13], s[24:25]
	v_dual_ashrrev_i32 v7, 31, v6 :: v_dual_ashrrev_i32 v1, 31, v0
	s_delay_alu instid0(VALU_DEP_2)
	v_mul_u64_e32 v[4:5], s[14:15], v[4:5]
	s_wait_kmcnt 0x0
	s_add_nc_u64 s[0:1], s[0:1], s[2:3]
	s_lshl_b64 s[2:3], s[4:5], 3
	v_mul_u64_e32 v[6:7], s[18:19], v[6:7]
	v_mul_u64_e32 v[0:1], s[16:17], v[0:1]
	s_add_nc_u64 s[0:1], s[0:1], s[2:3]
	s_delay_alu instid0(VALU_DEP_3) | instid1(SALU_CYCLE_1)
	v_lshl_add_u64 v[4:5], v[4:5], 3, s[0:1]
	s_delay_alu instid0(VALU_DEP_1) | instskip(NEXT) | instid1(VALU_DEP_1)
	v_lshl_add_u64 v[0:1], v[0:1], 3, v[4:5]
	v_lshl_add_u64 v[0:1], v[6:7], 3, v[0:1]
	s_wait_xcnt 0x0
	s_wait_loadcnt 0x0
	global_atomic_add_f64 v[0:1], v[2:3], off scope:SCOPE_DEV
.LBB6_14:
	s_endpgm
	.section	.rodata,"a",@progbits
	.p2align	6, 0x0
	.amdhsa_kernel _ZN2at6native12_GLOBAL__N_131replication_pad_backward_kernelIdEEvN5torch10headeronly6detail27GenericPackedTensorAccessorINS5_14TensorAccessorIN3c108ArrayRefIlEET_Lm4ENS4_16DefaultPtrTraitsElEENS_6detail16IndexBoundsCheckILm5ElEESB_Lm5ESC_lEENS6_INS7_ISA_KSB_Lm4ESC_lEESG_SI_Lm5ESC_lEEiiiii
		.amdhsa_group_segment_fixed_size 0
		.amdhsa_private_segment_fixed_size 0
		.amdhsa_kernarg_size 456
		.amdhsa_user_sgpr_count 2
		.amdhsa_user_sgpr_dispatch_ptr 0
		.amdhsa_user_sgpr_queue_ptr 0
		.amdhsa_user_sgpr_kernarg_segment_ptr 1
		.amdhsa_user_sgpr_dispatch_id 0
		.amdhsa_user_sgpr_kernarg_preload_length 0
		.amdhsa_user_sgpr_kernarg_preload_offset 0
		.amdhsa_user_sgpr_private_segment_size 0
		.amdhsa_wavefront_size32 1
		.amdhsa_uses_dynamic_stack 0
		.amdhsa_enable_private_segment 0
		.amdhsa_system_sgpr_workgroup_id_x 1
		.amdhsa_system_sgpr_workgroup_id_y 1
		.amdhsa_system_sgpr_workgroup_id_z 1
		.amdhsa_system_sgpr_workgroup_info 0
		.amdhsa_system_vgpr_workitem_id 0
		.amdhsa_next_free_vgpr 22
		.amdhsa_next_free_sgpr 28
		.amdhsa_named_barrier_count 0
		.amdhsa_reserve_vcc 1
		.amdhsa_float_round_mode_32 0
		.amdhsa_float_round_mode_16_64 0
		.amdhsa_float_denorm_mode_32 3
		.amdhsa_float_denorm_mode_16_64 3
		.amdhsa_fp16_overflow 0
		.amdhsa_memory_ordered 1
		.amdhsa_forward_progress 1
		.amdhsa_inst_pref_size 23
		.amdhsa_round_robin_scheduling 0
		.amdhsa_exception_fp_ieee_invalid_op 0
		.amdhsa_exception_fp_denorm_src 0
		.amdhsa_exception_fp_ieee_div_zero 0
		.amdhsa_exception_fp_ieee_overflow 0
		.amdhsa_exception_fp_ieee_underflow 0
		.amdhsa_exception_fp_ieee_inexact 0
		.amdhsa_exception_int_div_zero 0
	.end_amdhsa_kernel
	.section	.text._ZN2at6native12_GLOBAL__N_131replication_pad_backward_kernelIdEEvN5torch10headeronly6detail27GenericPackedTensorAccessorINS5_14TensorAccessorIN3c108ArrayRefIlEET_Lm4ENS4_16DefaultPtrTraitsElEENS_6detail16IndexBoundsCheckILm5ElEESB_Lm5ESC_lEENS6_INS7_ISA_KSB_Lm4ESC_lEESG_SI_Lm5ESC_lEEiiiii,"axG",@progbits,_ZN2at6native12_GLOBAL__N_131replication_pad_backward_kernelIdEEvN5torch10headeronly6detail27GenericPackedTensorAccessorINS5_14TensorAccessorIN3c108ArrayRefIlEET_Lm4ENS4_16DefaultPtrTraitsElEENS_6detail16IndexBoundsCheckILm5ElEESB_Lm5ESC_lEENS6_INS7_ISA_KSB_Lm4ESC_lEESG_SI_Lm5ESC_lEEiiiii,comdat
.Lfunc_end6:
	.size	_ZN2at6native12_GLOBAL__N_131replication_pad_backward_kernelIdEEvN5torch10headeronly6detail27GenericPackedTensorAccessorINS5_14TensorAccessorIN3c108ArrayRefIlEET_Lm4ENS4_16DefaultPtrTraitsElEENS_6detail16IndexBoundsCheckILm5ElEESB_Lm5ESC_lEENS6_INS7_ISA_KSB_Lm4ESC_lEESG_SI_Lm5ESC_lEEiiiii, .Lfunc_end6-_ZN2at6native12_GLOBAL__N_131replication_pad_backward_kernelIdEEvN5torch10headeronly6detail27GenericPackedTensorAccessorINS5_14TensorAccessorIN3c108ArrayRefIlEET_Lm4ENS4_16DefaultPtrTraitsElEENS_6detail16IndexBoundsCheckILm5ElEESB_Lm5ESC_lEENS6_INS7_ISA_KSB_Lm4ESC_lEESG_SI_Lm5ESC_lEEiiiii
                                        ; -- End function
	.set _ZN2at6native12_GLOBAL__N_131replication_pad_backward_kernelIdEEvN5torch10headeronly6detail27GenericPackedTensorAccessorINS5_14TensorAccessorIN3c108ArrayRefIlEET_Lm4ENS4_16DefaultPtrTraitsElEENS_6detail16IndexBoundsCheckILm5ElEESB_Lm5ESC_lEENS6_INS7_ISA_KSB_Lm4ESC_lEESG_SI_Lm5ESC_lEEiiiii.num_vgpr, 22
	.set _ZN2at6native12_GLOBAL__N_131replication_pad_backward_kernelIdEEvN5torch10headeronly6detail27GenericPackedTensorAccessorINS5_14TensorAccessorIN3c108ArrayRefIlEET_Lm4ENS4_16DefaultPtrTraitsElEENS_6detail16IndexBoundsCheckILm5ElEESB_Lm5ESC_lEENS6_INS7_ISA_KSB_Lm4ESC_lEESG_SI_Lm5ESC_lEEiiiii.num_agpr, 0
	.set _ZN2at6native12_GLOBAL__N_131replication_pad_backward_kernelIdEEvN5torch10headeronly6detail27GenericPackedTensorAccessorINS5_14TensorAccessorIN3c108ArrayRefIlEET_Lm4ENS4_16DefaultPtrTraitsElEENS_6detail16IndexBoundsCheckILm5ElEESB_Lm5ESC_lEENS6_INS7_ISA_KSB_Lm4ESC_lEESG_SI_Lm5ESC_lEEiiiii.numbered_sgpr, 28
	.set _ZN2at6native12_GLOBAL__N_131replication_pad_backward_kernelIdEEvN5torch10headeronly6detail27GenericPackedTensorAccessorINS5_14TensorAccessorIN3c108ArrayRefIlEET_Lm4ENS4_16DefaultPtrTraitsElEENS_6detail16IndexBoundsCheckILm5ElEESB_Lm5ESC_lEENS6_INS7_ISA_KSB_Lm4ESC_lEESG_SI_Lm5ESC_lEEiiiii.num_named_barrier, 0
	.set _ZN2at6native12_GLOBAL__N_131replication_pad_backward_kernelIdEEvN5torch10headeronly6detail27GenericPackedTensorAccessorINS5_14TensorAccessorIN3c108ArrayRefIlEET_Lm4ENS4_16DefaultPtrTraitsElEENS_6detail16IndexBoundsCheckILm5ElEESB_Lm5ESC_lEENS6_INS7_ISA_KSB_Lm4ESC_lEESG_SI_Lm5ESC_lEEiiiii.private_seg_size, 0
	.set _ZN2at6native12_GLOBAL__N_131replication_pad_backward_kernelIdEEvN5torch10headeronly6detail27GenericPackedTensorAccessorINS5_14TensorAccessorIN3c108ArrayRefIlEET_Lm4ENS4_16DefaultPtrTraitsElEENS_6detail16IndexBoundsCheckILm5ElEESB_Lm5ESC_lEENS6_INS7_ISA_KSB_Lm4ESC_lEESG_SI_Lm5ESC_lEEiiiii.uses_vcc, 1
	.set _ZN2at6native12_GLOBAL__N_131replication_pad_backward_kernelIdEEvN5torch10headeronly6detail27GenericPackedTensorAccessorINS5_14TensorAccessorIN3c108ArrayRefIlEET_Lm4ENS4_16DefaultPtrTraitsElEENS_6detail16IndexBoundsCheckILm5ElEESB_Lm5ESC_lEENS6_INS7_ISA_KSB_Lm4ESC_lEESG_SI_Lm5ESC_lEEiiiii.uses_flat_scratch, 0
	.set _ZN2at6native12_GLOBAL__N_131replication_pad_backward_kernelIdEEvN5torch10headeronly6detail27GenericPackedTensorAccessorINS5_14TensorAccessorIN3c108ArrayRefIlEET_Lm4ENS4_16DefaultPtrTraitsElEENS_6detail16IndexBoundsCheckILm5ElEESB_Lm5ESC_lEENS6_INS7_ISA_KSB_Lm4ESC_lEESG_SI_Lm5ESC_lEEiiiii.has_dyn_sized_stack, 0
	.set _ZN2at6native12_GLOBAL__N_131replication_pad_backward_kernelIdEEvN5torch10headeronly6detail27GenericPackedTensorAccessorINS5_14TensorAccessorIN3c108ArrayRefIlEET_Lm4ENS4_16DefaultPtrTraitsElEENS_6detail16IndexBoundsCheckILm5ElEESB_Lm5ESC_lEENS6_INS7_ISA_KSB_Lm4ESC_lEESG_SI_Lm5ESC_lEEiiiii.has_recursion, 0
	.set _ZN2at6native12_GLOBAL__N_131replication_pad_backward_kernelIdEEvN5torch10headeronly6detail27GenericPackedTensorAccessorINS5_14TensorAccessorIN3c108ArrayRefIlEET_Lm4ENS4_16DefaultPtrTraitsElEENS_6detail16IndexBoundsCheckILm5ElEESB_Lm5ESC_lEENS6_INS7_ISA_KSB_Lm4ESC_lEESG_SI_Lm5ESC_lEEiiiii.has_indirect_call, 0
	.section	.AMDGPU.csdata,"",@progbits
; Kernel info:
; codeLenInByte = 2908
; TotalNumSgprs: 30
; NumVgprs: 22
; ScratchSize: 0
; MemoryBound: 0
; FloatMode: 240
; IeeeMode: 1
; LDSByteSize: 0 bytes/workgroup (compile time only)
; SGPRBlocks: 0
; VGPRBlocks: 1
; NumSGPRsForWavesPerEU: 30
; NumVGPRsForWavesPerEU: 22
; NamedBarCnt: 0
; Occupancy: 16
; WaveLimiterHint : 1
; COMPUTE_PGM_RSRC2:SCRATCH_EN: 0
; COMPUTE_PGM_RSRC2:USER_SGPR: 2
; COMPUTE_PGM_RSRC2:TRAP_HANDLER: 0
; COMPUTE_PGM_RSRC2:TGID_X_EN: 1
; COMPUTE_PGM_RSRC2:TGID_Y_EN: 1
; COMPUTE_PGM_RSRC2:TGID_Z_EN: 1
; COMPUTE_PGM_RSRC2:TIDIG_COMP_CNT: 0
	.section	.text._ZN2at6native12_GLOBAL__N_131replication_pad_backward_kernelIfEEvN5torch10headeronly6detail27GenericPackedTensorAccessorINS5_14TensorAccessorIN3c108ArrayRefIlEET_Lm4ENS4_16DefaultPtrTraitsElEENS_6detail16IndexBoundsCheckILm5ElEESB_Lm5ESC_lEENS6_INS7_ISA_KSB_Lm4ESC_lEESG_SI_Lm5ESC_lEEiiiii,"axG",@progbits,_ZN2at6native12_GLOBAL__N_131replication_pad_backward_kernelIfEEvN5torch10headeronly6detail27GenericPackedTensorAccessorINS5_14TensorAccessorIN3c108ArrayRefIlEET_Lm4ENS4_16DefaultPtrTraitsElEENS_6detail16IndexBoundsCheckILm5ElEESB_Lm5ESC_lEENS6_INS7_ISA_KSB_Lm4ESC_lEESG_SI_Lm5ESC_lEEiiiii,comdat
	.globl	_ZN2at6native12_GLOBAL__N_131replication_pad_backward_kernelIfEEvN5torch10headeronly6detail27GenericPackedTensorAccessorINS5_14TensorAccessorIN3c108ArrayRefIlEET_Lm4ENS4_16DefaultPtrTraitsElEENS_6detail16IndexBoundsCheckILm5ElEESB_Lm5ESC_lEENS6_INS7_ISA_KSB_Lm4ESC_lEESG_SI_Lm5ESC_lEEiiiii ; -- Begin function _ZN2at6native12_GLOBAL__N_131replication_pad_backward_kernelIfEEvN5torch10headeronly6detail27GenericPackedTensorAccessorINS5_14TensorAccessorIN3c108ArrayRefIlEET_Lm4ENS4_16DefaultPtrTraitsElEENS_6detail16IndexBoundsCheckILm5ElEESB_Lm5ESC_lEENS6_INS7_ISA_KSB_Lm4ESC_lEESG_SI_Lm5ESC_lEEiiiii
	.p2align	8
	.type	_ZN2at6native12_GLOBAL__N_131replication_pad_backward_kernelIfEEvN5torch10headeronly6detail27GenericPackedTensorAccessorINS5_14TensorAccessorIN3c108ArrayRefIlEET_Lm4ENS4_16DefaultPtrTraitsElEENS_6detail16IndexBoundsCheckILm5ElEESB_Lm5ESC_lEENS6_INS7_ISA_KSB_Lm4ESC_lEESG_SI_Lm5ESC_lEEiiiii,@function
_ZN2at6native12_GLOBAL__N_131replication_pad_backward_kernelIfEEvN5torch10headeronly6detail27GenericPackedTensorAccessorINS5_14TensorAccessorIN3c108ArrayRefIlEET_Lm4ENS4_16DefaultPtrTraitsElEENS_6detail16IndexBoundsCheckILm5ElEESB_Lm5ESC_lEENS6_INS7_ISA_KSB_Lm4ESC_lEESG_SI_Lm5ESC_lEEiiiii: ; @_ZN2at6native12_GLOBAL__N_131replication_pad_backward_kernelIfEEvN5torch10headeronly6detail27GenericPackedTensorAccessorINS5_14TensorAccessorIN3c108ArrayRefIlEET_Lm4ENS4_16DefaultPtrTraitsElEENS_6detail16IndexBoundsCheckILm5ElEESB_Lm5ESC_lEENS6_INS7_ISA_KSB_Lm4ESC_lEESG_SI_Lm5ESC_lEEiiiii
; %bb.0:
	s_load_b32 s2, s[0:1], 0xd4
	s_bfe_u32 s4, ttmp6, 0x4000c
	s_and_b32 s10, ttmp6, 15
	s_add_co_i32 s11, s4, 1
	s_clause 0x1
	s_load_b128 s[4:7], s[0:1], 0x70
	s_load_b64 s[8:9], s[0:1], 0x80
	s_mul_i32 s11, ttmp9, s11
	s_getreg_b32 s3, hwreg(HW_REG_IB_STS2, 6, 4)
	s_add_co_i32 s10, s10, s11
	s_wait_kmcnt 0x0
	s_and_b32 s2, s2, 0xffff
	s_cmp_eq_u32 s3, 0
	s_cselect_b32 s10, ttmp9, s10
	s_delay_alu instid0(SALU_CYCLE_1) | instskip(SKIP_3) | instid1(VALU_DEP_1)
	v_mad_u32 v0, s10, s2, v0
	s_mul_u64 s[10:11], s[8:9], s[6:7]
	s_mov_b32 s2, exec_lo
	s_mul_u64 s[4:5], s[10:11], s[4:5]
	v_ashrrev_i32_e32 v1, 31, v0
	s_delay_alu instid0(VALU_DEP_1)
	v_cmpx_gt_i64_e64 s[4:5], v[0:1]
	s_cbranch_execz .LBB7_14
; %bb.1:
	v_dual_mov_b32 v6, 0 :: v_dual_bitop2_b32 v7, s9, v1 bitop3:0x54
	v_ashrrev_i32_e32 v2, 31, v1
                                        ; implicit-def: $vgpr4_vgpr5
	s_mov_b32 s2, exec_lo
	s_delay_alu instid0(VALU_DEP_2)
	v_cmpx_ne_u64_e32 0, v[6:7]
	s_xor_b32 s14, exec_lo, s2
	s_cbranch_execz .LBB7_3
; %bb.2:
	s_ashr_i32 s4, s9, 31
	s_mov_b32 s23, 0
	s_mov_b32 s5, s4
	v_dual_mov_b32 v3, v2 :: v_dual_mov_b32 v9, v6
	s_add_nc_u64 s[12:13], s[8:9], s[4:5]
	v_mov_b32_e32 v7, v6
	s_xor_b64 s[12:13], s[12:13], s[4:5]
	s_delay_alu instid0(VALU_DEP_2) | instskip(SKIP_4) | instid1(SALU_CYCLE_1)
	v_add_nc_u64_e32 v[4:5], v[0:1], v[2:3]
	s_cvt_f32_u32 s2, s12
	s_cvt_f32_u32 s5, s13
	s_sub_nc_u64 s[18:19], 0, s[12:13]
	v_dual_mov_b32 v11, v6 :: v_dual_mov_b32 v17, v6
	s_fmamk_f32 s2, s5, 0x4f800000, s2
	s_delay_alu instid0(VALU_DEP_2) | instskip(SKIP_1) | instid1(SALU_CYCLE_1)
	v_xor_b32_e32 v8, v4, v2
	v_xor_b32_e32 v10, v5, v2
	v_s_rcp_f32 s2, s2
	s_delay_alu instid0(TRANS32_DEP_1) | instskip(NEXT) | instid1(SALU_CYCLE_3)
	s_mul_f32 s2, s2, 0x5f7ffffc
	s_mul_f32 s5, s2, 0x2f800000
	s_delay_alu instid0(SALU_CYCLE_3) | instskip(NEXT) | instid1(SALU_CYCLE_3)
	s_trunc_f32 s5, s5
	s_fmamk_f32 s2, s5, 0xcf800000, s2
	s_cvt_u32_f32 s17, s5
	s_delay_alu instid0(SALU_CYCLE_2) | instskip(NEXT) | instid1(SALU_CYCLE_3)
	s_cvt_u32_f32 s16, s2
	s_mul_u64 s[20:21], s[18:19], s[16:17]
	s_delay_alu instid0(SALU_CYCLE_1)
	s_mul_hi_u32 s25, s16, s21
	s_mul_i32 s24, s16, s21
	s_mul_hi_u32 s22, s16, s20
	s_mul_i32 s5, s17, s20
	s_add_nc_u64 s[24:25], s[22:23], s[24:25]
	s_mul_hi_u32 s2, s17, s20
	s_mul_hi_u32 s15, s17, s21
	s_add_co_u32 s5, s24, s5
	s_add_co_ci_u32 s22, s25, s2
	s_mul_i32 s20, s17, s21
	s_add_co_ci_u32 s21, s15, 0
	s_delay_alu instid0(SALU_CYCLE_1) | instskip(NEXT) | instid1(SALU_CYCLE_1)
	s_add_nc_u64 s[20:21], s[22:23], s[20:21]
	s_add_co_u32 s16, s16, s20
	s_cselect_b32 s2, -1, 0
	s_delay_alu instid0(SALU_CYCLE_1) | instskip(SKIP_1) | instid1(SALU_CYCLE_1)
	s_cmp_lg_u32 s2, 0
	s_add_co_ci_u32 s17, s17, s21
	s_mul_u64 s[18:19], s[18:19], s[16:17]
	s_delay_alu instid0(SALU_CYCLE_1)
	s_mul_hi_u32 s21, s16, s19
	s_mul_i32 s20, s16, s19
	s_mul_hi_u32 s22, s16, s18
	s_mul_i32 s5, s17, s18
	s_add_nc_u64 s[20:21], s[22:23], s[20:21]
	s_mul_hi_u32 s2, s17, s18
	s_mul_hi_u32 s15, s17, s19
	s_add_co_u32 s5, s20, s5
	s_add_co_ci_u32 s22, s21, s2
	s_mul_i32 s18, s17, s19
	s_add_co_ci_u32 s19, s15, 0
	s_delay_alu instid0(SALU_CYCLE_1) | instskip(NEXT) | instid1(SALU_CYCLE_1)
	s_add_nc_u64 s[18:19], s[22:23], s[18:19]
	s_add_co_u32 s2, s16, s18
	s_cselect_b32 s5, -1, 0
	v_nop
	v_mul_hi_u32 v16, v8, s2
	s_cmp_lg_u32 s5, 0
	s_add_co_ci_u32 s22, s17, s19
	s_mov_b64 s[16:17], 0xffffffff
	v_mul_u64_e32 v[12:13], s[22:23], v[8:9]
	s_and_b64 s[16:17], s[2:3], s[16:17]
	v_mul_u64_e32 v[14:15], s[22:23], v[10:11]
	v_mul_u64_e32 v[4:5], s[16:17], v[10:11]
	s_delay_alu instid0(VALU_DEP_3) | instskip(NEXT) | instid1(VALU_DEP_1)
	v_add_nc_u64_e32 v[12:13], v[16:17], v[12:13]
	v_add_co_u32 v3, vcc_lo, v12, v4
	s_delay_alu instid0(VALU_DEP_2) | instskip(SKIP_1) | instid1(VALU_DEP_1)
	v_add_co_ci_u32_e32 v6, vcc_lo, v13, v5, vcc_lo
	v_add_co_ci_u32_e32 v15, vcc_lo, 0, v15, vcc_lo
	v_add_nc_u64_e32 v[4:5], v[6:7], v[14:15]
	s_delay_alu instid0(VALU_DEP_1) | instskip(NEXT) | instid1(VALU_DEP_1)
	v_mul_u64_e32 v[6:7], s[12:13], v[4:5]
	v_sub_nc_u32_e32 v3, v10, v7
	s_delay_alu instid0(VALU_DEP_2) | instskip(NEXT) | instid1(VALU_DEP_1)
	v_sub_co_u32 v6, vcc_lo, v8, v6
	v_sub_co_ci_u32_e64 v10, null, v10, v7, vcc_lo
	s_delay_alu instid0(VALU_DEP_3) | instskip(NEXT) | instid1(VALU_DEP_3)
	v_subrev_co_ci_u32_e64 v3, null, s13, v3, vcc_lo
	v_sub_co_u32 v8, s2, v6, s12
	s_delay_alu instid0(VALU_DEP_1) | instskip(NEXT) | instid1(VALU_DEP_2)
	v_subrev_co_ci_u32_e64 v3, null, 0, v3, s2
	v_cmp_le_u32_e32 vcc_lo, s12, v8
	v_cndmask_b32_e64 v7, 0, -1, vcc_lo
	s_delay_alu instid0(VALU_DEP_3)
	v_cmp_le_u32_e32 vcc_lo, s13, v3
	v_cndmask_b32_e64 v8, 0, -1, vcc_lo
	v_cmp_le_u32_e32 vcc_lo, s12, v6
	v_cndmask_b32_e64 v11, 0, -1, vcc_lo
	;; [unrolled: 2-line block ×3, first 2 shown]
	v_cmp_eq_u32_e32 vcc_lo, s13, v3
	v_cndmask_b32_e32 v3, v8, v7, vcc_lo
	v_cmp_eq_u32_e32 vcc_lo, s13, v10
	v_add_nc_u64_e32 v[6:7], 2, v[4:5]
	v_add_nc_u64_e32 v[8:9], 1, v[4:5]
	v_cndmask_b32_e32 v10, v12, v11, vcc_lo
	v_cmp_ne_u32_e32 vcc_lo, 0, v3
	s_delay_alu instid0(VALU_DEP_2) | instskip(NEXT) | instid1(VALU_DEP_4)
	v_cmp_ne_u32_e64 s2, 0, v10
	v_dual_cndmask_b32 v3, v9, v7, vcc_lo :: v_dual_cndmask_b32 v7, v8, v6, vcc_lo
	s_delay_alu instid0(VALU_DEP_1) | instskip(NEXT) | instid1(VALU_DEP_1)
	v_dual_cndmask_b32 v4, v4, v7, s2 :: v_dual_bitop2_b32 v6, s4, v2 bitop3:0x14
	v_dual_cndmask_b32 v3, v5, v3, s2 :: v_dual_mov_b32 v7, v6
	s_delay_alu instid0(VALU_DEP_2) | instskip(NEXT) | instid1(VALU_DEP_2)
	v_xor_b32_e32 v4, v4, v6
	v_xor_b32_e32 v5, v3, v6
	s_delay_alu instid0(VALU_DEP_1)
	v_sub_nc_u64_e32 v[4:5], v[4:5], v[6:7]
.LBB7_3:
	s_and_not1_saveexec_b32 s2, s14
	s_cbranch_execz .LBB7_5
; %bb.4:
	v_cvt_f32_u32_e32 v3, s8
	s_sub_co_i32 s4, 0, s8
	s_delay_alu instid0(VALU_DEP_1) | instskip(SKIP_1) | instid1(TRANS32_DEP_1)
	v_rcp_iflag_f32_e32 v3, v3
	v_nop
	v_mul_f32_e32 v3, 0x4f7ffffe, v3
	s_delay_alu instid0(VALU_DEP_1) | instskip(NEXT) | instid1(VALU_DEP_1)
	v_cvt_u32_f32_e32 v3, v3
	v_mul_lo_u32 v4, s4, v3
	s_delay_alu instid0(VALU_DEP_1) | instskip(NEXT) | instid1(VALU_DEP_1)
	v_mul_hi_u32 v4, v3, v4
	v_add_nc_u32_e32 v3, v3, v4
	s_delay_alu instid0(VALU_DEP_1) | instskip(NEXT) | instid1(VALU_DEP_1)
	v_mul_hi_u32 v3, v0, v3
	v_mul_lo_u32 v4, v3, s8
	s_delay_alu instid0(VALU_DEP_1) | instskip(NEXT) | instid1(VALU_DEP_1)
	v_dual_add_nc_u32 v5, 1, v3 :: v_dual_sub_nc_u32 v4, v0, v4
	v_subrev_nc_u32_e32 v6, s8, v4
	v_cmp_le_u32_e32 vcc_lo, s8, v4
	s_delay_alu instid0(VALU_DEP_2) | instskip(NEXT) | instid1(VALU_DEP_1)
	v_dual_cndmask_b32 v4, v4, v6 :: v_dual_cndmask_b32 v3, v3, v5
	v_cmp_le_u32_e32 vcc_lo, s8, v4
	s_delay_alu instid0(VALU_DEP_2) | instskip(NEXT) | instid1(VALU_DEP_1)
	v_add_nc_u32_e32 v5, 1, v3
	v_dual_cndmask_b32 v4, v3, v5 :: v_dual_mov_b32 v5, 0
.LBB7_5:
	s_or_b32 exec_lo, exec_lo, s2
	s_delay_alu instid0(VALU_DEP_1) | instskip(SKIP_1) | instid1(VALU_DEP_1)
	v_dual_mov_b32 v8, 0 :: v_dual_bitop2_b32 v9, s7, v5 bitop3:0x54
                                        ; implicit-def: $vgpr6_vgpr7
	s_mov_b32 s2, exec_lo
	v_cmpx_ne_u64_e32 0, v[8:9]
	s_xor_b32 s12, exec_lo, s2
	s_cbranch_execz .LBB7_7
; %bb.6:
	s_ashr_i32 s4, s7, 31
	s_mov_b32 s21, 0
	s_mov_b32 s5, s4
	v_dual_mov_b32 v13, v8 :: v_dual_ashrrev_i32 v6, 31, v5
	s_add_nc_u64 s[14:15], s[6:7], s[4:5]
	v_mov_b32_e32 v15, v8
	s_xor_b64 s[4:5], s[14:15], s[4:5]
	s_delay_alu instid0(VALU_DEP_2)
	v_mov_b32_e32 v7, v6
	s_cvt_f32_u32 s2, s4
	s_cvt_f32_u32 s7, s5
	s_sub_nc_u64 s[16:17], 0, s[4:5]
	v_mov_b32_e32 v21, v8
	v_add_nc_u64_e32 v[10:11], v[4:5], v[6:7]
	s_fmamk_f32 s2, s7, 0x4f800000, s2
	v_mov_b32_e32 v9, v8
	s_delay_alu instid0(SALU_CYCLE_2) | instskip(NEXT) | instid1(VALU_DEP_2)
	v_s_rcp_f32 s2, s2
	v_xor_b32_e32 v12, v10, v6
	s_delay_alu instid0(VALU_DEP_3) | instskip(NEXT) | instid1(TRANS32_DEP_1)
	v_xor_b32_e32 v14, v11, v6
	s_mul_f32 s2, s2, 0x5f7ffffc
	s_delay_alu instid0(SALU_CYCLE_3) | instskip(NEXT) | instid1(SALU_CYCLE_3)
	s_mul_f32 s7, s2, 0x2f800000
	s_trunc_f32 s7, s7
	s_delay_alu instid0(SALU_CYCLE_3) | instskip(SKIP_1) | instid1(SALU_CYCLE_2)
	s_fmamk_f32 s2, s7, 0xcf800000, s2
	s_cvt_u32_f32 s15, s7
	s_cvt_u32_f32 s14, s2
	s_delay_alu instid0(SALU_CYCLE_3) | instskip(NEXT) | instid1(SALU_CYCLE_1)
	s_mul_u64 s[18:19], s[16:17], s[14:15]
	s_mul_hi_u32 s23, s14, s19
	s_mul_i32 s22, s14, s19
	s_mul_hi_u32 s20, s14, s18
	s_mul_i32 s7, s15, s18
	s_add_nc_u64 s[22:23], s[20:21], s[22:23]
	s_mul_hi_u32 s2, s15, s18
	s_mul_hi_u32 s13, s15, s19
	s_add_co_u32 s7, s22, s7
	s_add_co_ci_u32 s20, s23, s2
	s_mul_i32 s18, s15, s19
	s_add_co_ci_u32 s19, s13, 0
	s_delay_alu instid0(SALU_CYCLE_1) | instskip(NEXT) | instid1(SALU_CYCLE_1)
	s_add_nc_u64 s[18:19], s[20:21], s[18:19]
	s_add_co_u32 s14, s14, s18
	s_cselect_b32 s2, -1, 0
	s_delay_alu instid0(SALU_CYCLE_1) | instskip(SKIP_1) | instid1(SALU_CYCLE_1)
	s_cmp_lg_u32 s2, 0
	s_add_co_ci_u32 s15, s15, s19
	s_mul_u64 s[16:17], s[16:17], s[14:15]
	s_delay_alu instid0(SALU_CYCLE_1)
	s_mul_hi_u32 s19, s14, s17
	s_mul_i32 s18, s14, s17
	s_mul_hi_u32 s20, s14, s16
	s_mul_i32 s7, s15, s16
	s_add_nc_u64 s[18:19], s[20:21], s[18:19]
	s_mul_hi_u32 s2, s15, s16
	s_mul_hi_u32 s13, s15, s17
	s_add_co_u32 s7, s18, s7
	s_add_co_ci_u32 s20, s19, s2
	s_mul_i32 s16, s15, s17
	s_add_co_ci_u32 s17, s13, 0
	s_delay_alu instid0(SALU_CYCLE_1) | instskip(NEXT) | instid1(SALU_CYCLE_1)
	s_add_nc_u64 s[16:17], s[20:21], s[16:17]
	s_add_co_u32 s2, s14, s16
	s_cselect_b32 s7, -1, 0
	v_mul_hi_u32 v20, v12, s2
	s_cmp_lg_u32 s7, 0
	s_add_co_ci_u32 s20, s15, s17
	s_mov_b64 s[14:15], 0xffffffff
	v_mul_u64_e32 v[16:17], s[20:21], v[12:13]
	s_and_b64 s[14:15], s[2:3], s[14:15]
	v_mul_u64_e32 v[18:19], s[20:21], v[14:15]
	v_mul_u64_e32 v[10:11], s[14:15], v[14:15]
	s_delay_alu instid0(VALU_DEP_3) | instskip(NEXT) | instid1(VALU_DEP_1)
	v_add_nc_u64_e32 v[16:17], v[20:21], v[16:17]
	v_add_co_u32 v3, vcc_lo, v16, v10
	s_delay_alu instid0(VALU_DEP_2) | instskip(SKIP_1) | instid1(VALU_DEP_1)
	v_add_co_ci_u32_e32 v8, vcc_lo, v17, v11, vcc_lo
	v_add_co_ci_u32_e32 v19, vcc_lo, 0, v19, vcc_lo
	v_add_nc_u64_e32 v[8:9], v[8:9], v[18:19]
	s_delay_alu instid0(VALU_DEP_1) | instskip(NEXT) | instid1(VALU_DEP_1)
	v_mul_u64_e32 v[8:9], s[4:5], v[8:9]
	v_sub_co_u32 v8, vcc_lo, v12, v8
	s_delay_alu instid0(VALU_DEP_1) | instskip(NEXT) | instid1(VALU_DEP_1)
	v_cmp_le_u32_e64 s2, s4, v8
	v_cndmask_b32_e64 v12, 0, -1, s2
	s_delay_alu instid0(VALU_DEP_4) | instskip(SKIP_1) | instid1(VALU_DEP_2)
	v_sub_nc_u32_e32 v3, v14, v9
	v_sub_co_ci_u32_e64 v9, null, v14, v9, vcc_lo
	v_subrev_co_ci_u32_e64 v3, null, s5, v3, vcc_lo
	v_sub_co_u32 v10, vcc_lo, v8, s4
	s_delay_alu instid0(VALU_DEP_1) | instskip(NEXT) | instid1(VALU_DEP_2)
	v_subrev_co_ci_u32_e64 v11, null, 0, v3, vcc_lo
	v_cmp_le_u32_e64 s2, s4, v10
	v_subrev_co_ci_u32_e64 v3, null, s5, v3, vcc_lo
	v_cmp_le_u32_e32 vcc_lo, s5, v9
	s_delay_alu instid0(VALU_DEP_3) | instskip(SKIP_3) | instid1(VALU_DEP_3)
	v_cndmask_b32_e64 v13, 0, -1, s2
	v_cmp_le_u32_e64 s2, s5, v11
	v_cndmask_b32_e64 v15, 0, -1, vcc_lo
	v_cmp_eq_u32_e32 vcc_lo, s5, v11
	v_cndmask_b32_e64 v14, 0, -1, s2
	v_cmp_eq_u32_e64 s2, s5, v9
	s_delay_alu instid0(VALU_DEP_2) | instskip(SKIP_1) | instid1(VALU_DEP_1)
	v_cndmask_b32_e32 v13, v14, v13, vcc_lo
	v_sub_co_u32 v14, vcc_lo, v10, s4
	v_subrev_co_ci_u32_e64 v3, null, 0, v3, vcc_lo
	s_delay_alu instid0(VALU_DEP_3) | instskip(SKIP_1) | instid1(VALU_DEP_3)
	v_cmp_ne_u32_e32 vcc_lo, 0, v13
	v_cndmask_b32_e64 v12, v15, v12, s2
	v_dual_cndmask_b32 v3, v11, v3 :: v_dual_cndmask_b32 v10, v10, v14
	s_delay_alu instid0(VALU_DEP_2) | instskip(NEXT) | instid1(VALU_DEP_2)
	v_cmp_ne_u32_e32 vcc_lo, 0, v12
	v_dual_cndmask_b32 v3, v9, v3 :: v_dual_cndmask_b32 v8, v8, v10
	s_delay_alu instid0(VALU_DEP_1) | instskip(NEXT) | instid1(VALU_DEP_2)
	v_xor_b32_e32 v9, v3, v6
	v_xor_b32_e32 v8, v8, v6
	s_delay_alu instid0(VALU_DEP_1)
	v_sub_nc_u64_e32 v[6:7], v[8:9], v[6:7]
.LBB7_7:
	s_and_not1_saveexec_b32 s2, s12
	s_cbranch_execz .LBB7_9
; %bb.8:
	v_cvt_f32_u32_e32 v3, s6
	s_sub_co_i32 s4, 0, s6
	s_delay_alu instid0(VALU_DEP_1) | instskip(SKIP_1) | instid1(TRANS32_DEP_1)
	v_rcp_iflag_f32_e32 v3, v3
	v_nop
	v_mul_f32_e32 v3, 0x4f7ffffe, v3
	s_delay_alu instid0(VALU_DEP_1) | instskip(NEXT) | instid1(VALU_DEP_1)
	v_cvt_u32_f32_e32 v3, v3
	v_mul_lo_u32 v6, s4, v3
	s_delay_alu instid0(VALU_DEP_1) | instskip(NEXT) | instid1(VALU_DEP_1)
	v_mul_hi_u32 v6, v3, v6
	v_add_nc_u32_e32 v3, v3, v6
	s_delay_alu instid0(VALU_DEP_1) | instskip(NEXT) | instid1(VALU_DEP_1)
	v_mul_hi_u32 v3, v4, v3
	v_mul_lo_u32 v3, v3, s6
	s_delay_alu instid0(VALU_DEP_1) | instskip(NEXT) | instid1(VALU_DEP_1)
	v_sub_nc_u32_e32 v3, v4, v3
	v_subrev_nc_u32_e32 v6, s6, v3
	v_cmp_le_u32_e32 vcc_lo, s6, v3
	s_delay_alu instid0(VALU_DEP_2) | instskip(NEXT) | instid1(VALU_DEP_1)
	v_cndmask_b32_e32 v3, v3, v6, vcc_lo
	v_subrev_nc_u32_e32 v6, s6, v3
	v_cmp_le_u32_e32 vcc_lo, s6, v3
	s_delay_alu instid0(VALU_DEP_2)
	v_cndmask_b32_e32 v6, v3, v6, vcc_lo
.LBB7_9:
	s_or_b32 exec_lo, exec_lo, s2
	v_dual_mov_b32 v10, 0 :: v_dual_bitop2_b32 v11, s11, v1 bitop3:0x54
                                        ; implicit-def: $vgpr8_vgpr9
	s_mov_b32 s2, exec_lo
	s_delay_alu instid0(VALU_DEP_1)
	v_cmpx_ne_u64_e32 0, v[10:11]
	s_xor_b32 s12, exec_lo, s2
	s_cbranch_execz .LBB7_11
; %bb.10:
	s_ashr_i32 s4, s11, 31
	s_mov_b32 s21, 0
	s_mov_b32 s5, s4
	v_dual_mov_b32 v3, v2 :: v_dual_mov_b32 v13, v10
	s_add_nc_u64 s[6:7], s[10:11], s[4:5]
	v_mov_b32_e32 v11, v10
	s_xor_b64 s[6:7], s[6:7], s[4:5]
	s_delay_alu instid0(VALU_DEP_2) | instskip(SKIP_4) | instid1(SALU_CYCLE_1)
	v_add_nc_u64_e32 v[8:9], v[0:1], v[2:3]
	s_cvt_f32_u32 s2, s6
	s_cvt_f32_u32 s5, s7
	s_sub_nc_u64 s[16:17], 0, s[6:7]
	v_dual_mov_b32 v15, v10 :: v_dual_mov_b32 v21, v10
	s_fmamk_f32 s2, s5, 0x4f800000, s2
	s_delay_alu instid0(VALU_DEP_2) | instskip(SKIP_3) | instid1(TRANS32_DEP_1)
	v_xor_b32_e32 v12, v8, v2
	v_xor_b32_e32 v14, v9, v2
	;; [unrolled: 1-line block ×3, first 2 shown]
	v_s_rcp_f32 s2, s2
	s_mul_f32 s2, s2, 0x5f7ffffc
	s_delay_alu instid0(SALU_CYCLE_3) | instskip(NEXT) | instid1(SALU_CYCLE_3)
	s_mul_f32 s5, s2, 0x2f800000
	s_trunc_f32 s5, s5
	s_delay_alu instid0(SALU_CYCLE_3) | instskip(SKIP_1) | instid1(SALU_CYCLE_2)
	s_fmamk_f32 s2, s5, 0xcf800000, s2
	s_cvt_u32_f32 s15, s5
	s_cvt_u32_f32 s14, s2
	s_delay_alu instid0(SALU_CYCLE_3) | instskip(NEXT) | instid1(SALU_CYCLE_1)
	s_mul_u64 s[18:19], s[16:17], s[14:15]
	s_mul_hi_u32 s23, s14, s19
	s_mul_i32 s22, s14, s19
	s_mul_hi_u32 s20, s14, s18
	s_mul_i32 s5, s15, s18
	s_add_nc_u64 s[22:23], s[20:21], s[22:23]
	s_mul_hi_u32 s2, s15, s18
	s_mul_hi_u32 s11, s15, s19
	s_add_co_u32 s5, s22, s5
	s_add_co_ci_u32 s20, s23, s2
	s_mul_i32 s18, s15, s19
	s_add_co_ci_u32 s19, s11, 0
	s_delay_alu instid0(SALU_CYCLE_1) | instskip(NEXT) | instid1(SALU_CYCLE_1)
	s_add_nc_u64 s[18:19], s[20:21], s[18:19]
	s_add_co_u32 s14, s14, s18
	s_cselect_b32 s2, -1, 0
	s_delay_alu instid0(SALU_CYCLE_1) | instskip(SKIP_1) | instid1(SALU_CYCLE_1)
	s_cmp_lg_u32 s2, 0
	s_add_co_ci_u32 s15, s15, s19
	s_mul_u64 s[16:17], s[16:17], s[14:15]
	s_delay_alu instid0(SALU_CYCLE_1)
	s_mul_hi_u32 s19, s14, s17
	s_mul_i32 s18, s14, s17
	s_mul_hi_u32 s20, s14, s16
	s_mul_i32 s5, s15, s16
	s_add_nc_u64 s[18:19], s[20:21], s[18:19]
	s_mul_hi_u32 s2, s15, s16
	s_mul_hi_u32 s11, s15, s17
	s_add_co_u32 s5, s18, s5
	s_add_co_ci_u32 s20, s19, s2
	s_mul_i32 s16, s15, s17
	s_add_co_ci_u32 s17, s11, 0
	s_delay_alu instid0(SALU_CYCLE_1) | instskip(NEXT) | instid1(SALU_CYCLE_1)
	s_add_nc_u64 s[16:17], s[20:21], s[16:17]
	s_add_co_u32 s2, s14, s16
	s_cselect_b32 s5, -1, 0
	v_nop
	v_mul_hi_u32 v20, v12, s2
	s_cmp_lg_u32 s5, 0
	s_add_co_ci_u32 s20, s15, s17
	s_mov_b64 s[14:15], 0xffffffff
	v_mul_u64_e32 v[16:17], s[20:21], v[12:13]
	s_and_b64 s[14:15], s[2:3], s[14:15]
	v_mul_u64_e32 v[18:19], s[20:21], v[14:15]
	v_mul_u64_e32 v[8:9], s[14:15], v[14:15]
	s_delay_alu instid0(VALU_DEP_3) | instskip(NEXT) | instid1(VALU_DEP_1)
	v_add_nc_u64_e32 v[16:17], v[20:21], v[16:17]
	v_add_co_u32 v3, vcc_lo, v16, v8
	s_delay_alu instid0(VALU_DEP_2) | instskip(SKIP_1) | instid1(VALU_DEP_1)
	v_add_co_ci_u32_e32 v10, vcc_lo, v17, v9, vcc_lo
	v_add_co_ci_u32_e32 v19, vcc_lo, 0, v19, vcc_lo
	v_add_nc_u64_e32 v[8:9], v[10:11], v[18:19]
	s_delay_alu instid0(VALU_DEP_1) | instskip(NEXT) | instid1(VALU_DEP_1)
	v_mul_u64_e32 v[10:11], s[6:7], v[8:9]
	v_sub_co_u32 v7, vcc_lo, v12, v10
	v_add_nc_u64_e32 v[12:13], 1, v[8:9]
	s_delay_alu instid0(VALU_DEP_3) | instskip(SKIP_1) | instid1(VALU_DEP_4)
	v_sub_nc_u32_e32 v3, v14, v11
	v_sub_co_ci_u32_e64 v14, null, v14, v11, vcc_lo
	v_sub_co_u32 v10, s2, v7, s6
	s_delay_alu instid0(VALU_DEP_3) | instskip(NEXT) | instid1(VALU_DEP_2)
	v_subrev_co_ci_u32_e64 v3, null, s7, v3, vcc_lo
	v_cmp_le_u32_e32 vcc_lo, s6, v10
	s_delay_alu instid0(VALU_DEP_2) | instskip(SKIP_1) | instid1(VALU_DEP_2)
	v_subrev_co_ci_u32_e64 v3, null, 0, v3, s2
	v_cndmask_b32_e64 v10, 0, -1, vcc_lo
	v_cmp_le_u32_e32 vcc_lo, s7, v3
	v_cndmask_b32_e64 v11, 0, -1, vcc_lo
	v_cmp_le_u32_e32 vcc_lo, s6, v7
	;; [unrolled: 2-line block ×3, first 2 shown]
	v_cndmask_b32_e64 v15, 0, -1, vcc_lo
	v_cmp_eq_u32_e32 vcc_lo, s7, v3
	v_cndmask_b32_e32 v3, v11, v10, vcc_lo
	v_cmp_eq_u32_e32 vcc_lo, s7, v14
	v_add_nc_u64_e32 v[10:11], 2, v[8:9]
	v_cndmask_b32_e32 v7, v15, v7, vcc_lo
	s_delay_alu instid0(VALU_DEP_4) | instskip(NEXT) | instid1(VALU_DEP_2)
	v_cmp_ne_u32_e32 vcc_lo, 0, v3
	v_cmp_ne_u32_e64 s2, 0, v7
	s_delay_alu instid0(VALU_DEP_4) | instskip(NEXT) | instid1(VALU_DEP_1)
	v_dual_cndmask_b32 v3, v13, v11, vcc_lo :: v_dual_cndmask_b32 v7, v12, v10, vcc_lo
	v_dual_cndmask_b32 v9, v9, v3, s2 :: v_dual_mov_b32 v3, v2
	s_delay_alu instid0(VALU_DEP_1) | instskip(NEXT) | instid1(VALU_DEP_1)
	v_dual_cndmask_b32 v7, v8, v7, s2 :: v_dual_bitop2_b32 v9, v9, v2 bitop3:0x14
	v_xor_b32_e32 v8, v7, v2
	s_delay_alu instid0(VALU_DEP_1)
	v_sub_nc_u64_e32 v[8:9], v[8:9], v[2:3]
.LBB7_11:
	s_and_not1_saveexec_b32 s2, s12
	s_cbranch_execz .LBB7_13
; %bb.12:
	v_cvt_f32_u32_e32 v2, s10
	s_sub_co_i32 s4, 0, s10
	s_delay_alu instid0(VALU_DEP_1) | instskip(SKIP_1) | instid1(TRANS32_DEP_1)
	v_rcp_iflag_f32_e32 v2, v2
	v_nop
	v_mul_f32_e32 v2, 0x4f7ffffe, v2
	s_delay_alu instid0(VALU_DEP_1) | instskip(NEXT) | instid1(VALU_DEP_1)
	v_cvt_u32_f32_e32 v2, v2
	v_mul_lo_u32 v3, s4, v2
	s_delay_alu instid0(VALU_DEP_1) | instskip(NEXT) | instid1(VALU_DEP_1)
	v_mul_hi_u32 v3, v2, v3
	v_add_nc_u32_e32 v2, v2, v3
	s_delay_alu instid0(VALU_DEP_1) | instskip(NEXT) | instid1(VALU_DEP_1)
	v_mul_hi_u32 v2, v0, v2
	v_mul_lo_u32 v3, v2, s10
	s_delay_alu instid0(VALU_DEP_1) | instskip(NEXT) | instid1(VALU_DEP_1)
	v_dual_add_nc_u32 v7, 1, v2 :: v_dual_sub_nc_u32 v3, v0, v3
	v_subrev_nc_u32_e32 v8, s10, v3
	v_cmp_le_u32_e32 vcc_lo, s10, v3
	s_delay_alu instid0(VALU_DEP_2) | instskip(NEXT) | instid1(VALU_DEP_1)
	v_dual_cndmask_b32 v3, v3, v8 :: v_dual_cndmask_b32 v2, v2, v7
	v_cmp_le_u32_e32 vcc_lo, s10, v3
	s_delay_alu instid0(VALU_DEP_2) | instskip(NEXT) | instid1(VALU_DEP_1)
	v_add_nc_u32_e32 v7, 1, v2
	v_cndmask_b32_e32 v8, v2, v7, vcc_lo
.LBB7_13:
	s_or_b32 exec_lo, exec_lo, s2
	v_mul_u64_e32 v[2:3], s[8:9], v[4:5]
	s_clause 0x2
	s_load_b256 s[4:11], s[0:1], 0x88
	s_load_b64 s[12:13], s[0:1], 0xa8
	s_load_b128 s[20:23], s[0:1], 0xb0
	v_dual_ashrrev_i32 v9, 31, v8 :: v_dual_ashrrev_i32 v7, 31, v6
	s_load_b32 s2, s[0:1], 0xc0
	s_bfe_u32 s15, ttmp6, 0x40014
	s_lshr_b32 s14, ttmp7, 16
	s_add_co_i32 s15, s15, 1
	s_bfe_u32 s16, ttmp6, 0x40008
	s_mul_i32 s15, s14, s15
	s_delay_alu instid0(SALU_CYCLE_1) | instskip(SKIP_3) | instid1(VALU_DEP_3)
	s_add_co_i32 s16, s16, s15
	s_wait_kmcnt 0x0
	v_mul_u64_e32 v[4:5], s[8:9], v[8:9]
	s_load_b64 s[8:9], s[0:1], 0x58
	v_sub_nc_u64_e32 v[0:1], v[0:1], v[2:3]
	v_mul_u64_e32 v[2:3], s[10:11], v[6:7]
	s_bfe_u32 s10, ttmp6, 0x40010
	s_and_b32 s11, ttmp7, 0xffff
	s_add_co_i32 s10, s10, 1
	s_delay_alu instid0(SALU_CYCLE_1) | instskip(NEXT) | instid1(VALU_DEP_2)
	s_mul_i32 s10, s11, s10
	v_mul_u64_e32 v[10:11], s[12:13], v[0:1]
	s_bfe_u32 s12, ttmp6, 0x40004
	s_delay_alu instid0(SALU_CYCLE_1)
	s_add_co_i32 s12, s12, s10
	s_cmp_eq_u32 s3, 0
	s_cselect_b32 s3, s14, s16
	s_cselect_b32 s10, s11, s12
	s_add_co_i32 s2, s2, s3
	s_add_co_i32 s24, s23, s10
	s_ashr_i32 s3, s2, 31
	s_ashr_i32 s25, s24, 31
	s_mul_u64 s[4:5], s[4:5], s[2:3]
	s_mul_u64 s[6:7], s[6:7], s[24:25]
	s_lshl_b64 s[4:5], s[4:5], 2
	s_lshl_b64 s[6:7], s[6:7], 2
	s_wait_kmcnt 0x0
	s_add_nc_u64 s[4:5], s[8:9], s[4:5]
	s_max_i32 s27, s20, 0
	s_add_nc_u64 s[4:5], s[4:5], s[6:7]
	s_max_i32 s26, s21, 0
	s_delay_alu instid0(VALU_DEP_4)
	v_lshl_add_u64 v[4:5], v[4:5], 2, s[4:5]
	s_load_b512 s[4:19], s[0:1], 0x18
	s_wait_kmcnt 0x0
	s_sub_co_i32 s9, 0, s20
	s_sub_co_i32 s7, 0, s21
	s_max_i32 s9, s9, 0
	s_max_i32 s7, s7, 0
	s_delay_alu instid0(VALU_DEP_3) | instskip(SKIP_4) | instid1(VALU_DEP_3)
	v_lshl_add_u64 v[2:3], v[2:3], 2, v[4:5]
	s_sub_co_i32 s5, 0, s22
	s_max_i32 s23, s22, 0
	s_max_i32 s5, s5, 0
	s_load_b64 s[0:1], s[0:1], 0x0
	v_lshl_add_u64 v[2:3], v[10:11], 2, v[2:3]
	global_load_b32 v7, v[2:3], off
	s_add_co_i32 s4, s20, s4
	s_add_co_i32 s6, s21, s6
	s_add_co_i32 s4, s4, -1
	s_add_co_i32 s6, s6, -1
	v_maxmin_i32 v1, s20, v8, s4
	s_add_co_i32 s4, s22, s8
	s_sub_co_i32 s8, s9, s27
	s_wait_xcnt 0x0
	v_maxmin_i32 v3, s21, v6, s6
	s_sub_co_i32 s6, s7, s26
	v_add_nc_u32_e32 v2, s8, v1
	s_add_co_i32 s4, s4, -1
	s_mul_u64 s[2:3], s[10:11], s[2:3]
	v_maxmin_i32 v1, s22, v0, s4
	v_add_nc_u32_e32 v0, s6, v3
	s_sub_co_i32 s4, s5, s23
	v_ashrrev_i32_e32 v3, 31, v2
	s_lshl_b64 s[2:3], s[2:3], 2
	s_delay_alu instid0(VALU_DEP_2) | instskip(SKIP_1) | instid1(VALU_DEP_2)
	v_dual_add_nc_u32 v4, s4, v1 :: v_dual_ashrrev_i32 v1, 31, v0
	s_mul_u64 s[4:5], s[12:13], s[24:25]
	v_mul_u64_e32 v[2:3], s[14:15], v[2:3]
	s_wait_kmcnt 0x0
	s_add_nc_u64 s[0:1], s[0:1], s[2:3]
	v_ashrrev_i32_e32 v5, 31, v4
	v_mul_u64_e32 v[0:1], s[16:17], v[0:1]
	s_lshl_b64 s[2:3], s[4:5], 2
	s_delay_alu instid0(SALU_CYCLE_1) | instskip(NEXT) | instid1(VALU_DEP_2)
	s_add_nc_u64 s[0:1], s[0:1], s[2:3]
	v_mul_u64_e32 v[4:5], s[18:19], v[4:5]
	s_delay_alu instid0(VALU_DEP_4) | instskip(NEXT) | instid1(VALU_DEP_1)
	v_lshl_add_u64 v[2:3], v[2:3], 2, s[0:1]
	v_lshl_add_u64 v[0:1], v[0:1], 2, v[2:3]
	s_delay_alu instid0(VALU_DEP_1)
	v_lshl_add_u64 v[0:1], v[4:5], 2, v[0:1]
	s_wait_loadcnt 0x0
	global_atomic_add_f32 v[0:1], v7, off scope:SCOPE_DEV
.LBB7_14:
	s_endpgm
	.section	.rodata,"a",@progbits
	.p2align	6, 0x0
	.amdhsa_kernel _ZN2at6native12_GLOBAL__N_131replication_pad_backward_kernelIfEEvN5torch10headeronly6detail27GenericPackedTensorAccessorINS5_14TensorAccessorIN3c108ArrayRefIlEET_Lm4ENS4_16DefaultPtrTraitsElEENS_6detail16IndexBoundsCheckILm5ElEESB_Lm5ESC_lEENS6_INS7_ISA_KSB_Lm4ESC_lEESG_SI_Lm5ESC_lEEiiiii
		.amdhsa_group_segment_fixed_size 0
		.amdhsa_private_segment_fixed_size 0
		.amdhsa_kernarg_size 456
		.amdhsa_user_sgpr_count 2
		.amdhsa_user_sgpr_dispatch_ptr 0
		.amdhsa_user_sgpr_queue_ptr 0
		.amdhsa_user_sgpr_kernarg_segment_ptr 1
		.amdhsa_user_sgpr_dispatch_id 0
		.amdhsa_user_sgpr_kernarg_preload_length 0
		.amdhsa_user_sgpr_kernarg_preload_offset 0
		.amdhsa_user_sgpr_private_segment_size 0
		.amdhsa_wavefront_size32 1
		.amdhsa_uses_dynamic_stack 0
		.amdhsa_enable_private_segment 0
		.amdhsa_system_sgpr_workgroup_id_x 1
		.amdhsa_system_sgpr_workgroup_id_y 1
		.amdhsa_system_sgpr_workgroup_id_z 1
		.amdhsa_system_sgpr_workgroup_info 0
		.amdhsa_system_vgpr_workitem_id 0
		.amdhsa_next_free_vgpr 22
		.amdhsa_next_free_sgpr 28
		.amdhsa_named_barrier_count 0
		.amdhsa_reserve_vcc 1
		.amdhsa_float_round_mode_32 0
		.amdhsa_float_round_mode_16_64 0
		.amdhsa_float_denorm_mode_32 3
		.amdhsa_float_denorm_mode_16_64 3
		.amdhsa_fp16_overflow 0
		.amdhsa_memory_ordered 1
		.amdhsa_forward_progress 1
		.amdhsa_inst_pref_size 23
		.amdhsa_round_robin_scheduling 0
		.amdhsa_exception_fp_ieee_invalid_op 0
		.amdhsa_exception_fp_denorm_src 0
		.amdhsa_exception_fp_ieee_div_zero 0
		.amdhsa_exception_fp_ieee_overflow 0
		.amdhsa_exception_fp_ieee_underflow 0
		.amdhsa_exception_fp_ieee_inexact 0
		.amdhsa_exception_int_div_zero 0
	.end_amdhsa_kernel
	.section	.text._ZN2at6native12_GLOBAL__N_131replication_pad_backward_kernelIfEEvN5torch10headeronly6detail27GenericPackedTensorAccessorINS5_14TensorAccessorIN3c108ArrayRefIlEET_Lm4ENS4_16DefaultPtrTraitsElEENS_6detail16IndexBoundsCheckILm5ElEESB_Lm5ESC_lEENS6_INS7_ISA_KSB_Lm4ESC_lEESG_SI_Lm5ESC_lEEiiiii,"axG",@progbits,_ZN2at6native12_GLOBAL__N_131replication_pad_backward_kernelIfEEvN5torch10headeronly6detail27GenericPackedTensorAccessorINS5_14TensorAccessorIN3c108ArrayRefIlEET_Lm4ENS4_16DefaultPtrTraitsElEENS_6detail16IndexBoundsCheckILm5ElEESB_Lm5ESC_lEENS6_INS7_ISA_KSB_Lm4ESC_lEESG_SI_Lm5ESC_lEEiiiii,comdat
.Lfunc_end7:
	.size	_ZN2at6native12_GLOBAL__N_131replication_pad_backward_kernelIfEEvN5torch10headeronly6detail27GenericPackedTensorAccessorINS5_14TensorAccessorIN3c108ArrayRefIlEET_Lm4ENS4_16DefaultPtrTraitsElEENS_6detail16IndexBoundsCheckILm5ElEESB_Lm5ESC_lEENS6_INS7_ISA_KSB_Lm4ESC_lEESG_SI_Lm5ESC_lEEiiiii, .Lfunc_end7-_ZN2at6native12_GLOBAL__N_131replication_pad_backward_kernelIfEEvN5torch10headeronly6detail27GenericPackedTensorAccessorINS5_14TensorAccessorIN3c108ArrayRefIlEET_Lm4ENS4_16DefaultPtrTraitsElEENS_6detail16IndexBoundsCheckILm5ElEESB_Lm5ESC_lEENS6_INS7_ISA_KSB_Lm4ESC_lEESG_SI_Lm5ESC_lEEiiiii
                                        ; -- End function
	.set _ZN2at6native12_GLOBAL__N_131replication_pad_backward_kernelIfEEvN5torch10headeronly6detail27GenericPackedTensorAccessorINS5_14TensorAccessorIN3c108ArrayRefIlEET_Lm4ENS4_16DefaultPtrTraitsElEENS_6detail16IndexBoundsCheckILm5ElEESB_Lm5ESC_lEENS6_INS7_ISA_KSB_Lm4ESC_lEESG_SI_Lm5ESC_lEEiiiii.num_vgpr, 22
	.set _ZN2at6native12_GLOBAL__N_131replication_pad_backward_kernelIfEEvN5torch10headeronly6detail27GenericPackedTensorAccessorINS5_14TensorAccessorIN3c108ArrayRefIlEET_Lm4ENS4_16DefaultPtrTraitsElEENS_6detail16IndexBoundsCheckILm5ElEESB_Lm5ESC_lEENS6_INS7_ISA_KSB_Lm4ESC_lEESG_SI_Lm5ESC_lEEiiiii.num_agpr, 0
	.set _ZN2at6native12_GLOBAL__N_131replication_pad_backward_kernelIfEEvN5torch10headeronly6detail27GenericPackedTensorAccessorINS5_14TensorAccessorIN3c108ArrayRefIlEET_Lm4ENS4_16DefaultPtrTraitsElEENS_6detail16IndexBoundsCheckILm5ElEESB_Lm5ESC_lEENS6_INS7_ISA_KSB_Lm4ESC_lEESG_SI_Lm5ESC_lEEiiiii.numbered_sgpr, 28
	.set _ZN2at6native12_GLOBAL__N_131replication_pad_backward_kernelIfEEvN5torch10headeronly6detail27GenericPackedTensorAccessorINS5_14TensorAccessorIN3c108ArrayRefIlEET_Lm4ENS4_16DefaultPtrTraitsElEENS_6detail16IndexBoundsCheckILm5ElEESB_Lm5ESC_lEENS6_INS7_ISA_KSB_Lm4ESC_lEESG_SI_Lm5ESC_lEEiiiii.num_named_barrier, 0
	.set _ZN2at6native12_GLOBAL__N_131replication_pad_backward_kernelIfEEvN5torch10headeronly6detail27GenericPackedTensorAccessorINS5_14TensorAccessorIN3c108ArrayRefIlEET_Lm4ENS4_16DefaultPtrTraitsElEENS_6detail16IndexBoundsCheckILm5ElEESB_Lm5ESC_lEENS6_INS7_ISA_KSB_Lm4ESC_lEESG_SI_Lm5ESC_lEEiiiii.private_seg_size, 0
	.set _ZN2at6native12_GLOBAL__N_131replication_pad_backward_kernelIfEEvN5torch10headeronly6detail27GenericPackedTensorAccessorINS5_14TensorAccessorIN3c108ArrayRefIlEET_Lm4ENS4_16DefaultPtrTraitsElEENS_6detail16IndexBoundsCheckILm5ElEESB_Lm5ESC_lEENS6_INS7_ISA_KSB_Lm4ESC_lEESG_SI_Lm5ESC_lEEiiiii.uses_vcc, 1
	.set _ZN2at6native12_GLOBAL__N_131replication_pad_backward_kernelIfEEvN5torch10headeronly6detail27GenericPackedTensorAccessorINS5_14TensorAccessorIN3c108ArrayRefIlEET_Lm4ENS4_16DefaultPtrTraitsElEENS_6detail16IndexBoundsCheckILm5ElEESB_Lm5ESC_lEENS6_INS7_ISA_KSB_Lm4ESC_lEESG_SI_Lm5ESC_lEEiiiii.uses_flat_scratch, 0
	.set _ZN2at6native12_GLOBAL__N_131replication_pad_backward_kernelIfEEvN5torch10headeronly6detail27GenericPackedTensorAccessorINS5_14TensorAccessorIN3c108ArrayRefIlEET_Lm4ENS4_16DefaultPtrTraitsElEENS_6detail16IndexBoundsCheckILm5ElEESB_Lm5ESC_lEENS6_INS7_ISA_KSB_Lm4ESC_lEESG_SI_Lm5ESC_lEEiiiii.has_dyn_sized_stack, 0
	.set _ZN2at6native12_GLOBAL__N_131replication_pad_backward_kernelIfEEvN5torch10headeronly6detail27GenericPackedTensorAccessorINS5_14TensorAccessorIN3c108ArrayRefIlEET_Lm4ENS4_16DefaultPtrTraitsElEENS_6detail16IndexBoundsCheckILm5ElEESB_Lm5ESC_lEENS6_INS7_ISA_KSB_Lm4ESC_lEESG_SI_Lm5ESC_lEEiiiii.has_recursion, 0
	.set _ZN2at6native12_GLOBAL__N_131replication_pad_backward_kernelIfEEvN5torch10headeronly6detail27GenericPackedTensorAccessorINS5_14TensorAccessorIN3c108ArrayRefIlEET_Lm4ENS4_16DefaultPtrTraitsElEENS_6detail16IndexBoundsCheckILm5ElEESB_Lm5ESC_lEENS6_INS7_ISA_KSB_Lm4ESC_lEESG_SI_Lm5ESC_lEEiiiii.has_indirect_call, 0
	.section	.AMDGPU.csdata,"",@progbits
; Kernel info:
; codeLenInByte = 2904
; TotalNumSgprs: 30
; NumVgprs: 22
; ScratchSize: 0
; MemoryBound: 0
; FloatMode: 240
; IeeeMode: 1
; LDSByteSize: 0 bytes/workgroup (compile time only)
; SGPRBlocks: 0
; VGPRBlocks: 1
; NumSGPRsForWavesPerEU: 30
; NumVGPRsForWavesPerEU: 22
; NamedBarCnt: 0
; Occupancy: 16
; WaveLimiterHint : 1
; COMPUTE_PGM_RSRC2:SCRATCH_EN: 0
; COMPUTE_PGM_RSRC2:USER_SGPR: 2
; COMPUTE_PGM_RSRC2:TRAP_HANDLER: 0
; COMPUTE_PGM_RSRC2:TGID_X_EN: 1
; COMPUTE_PGM_RSRC2:TGID_Y_EN: 1
; COMPUTE_PGM_RSRC2:TGID_Z_EN: 1
; COMPUTE_PGM_RSRC2:TIDIG_COMP_CNT: 0
	.section	.text._ZN2at6native12_GLOBAL__N_131replication_pad_backward_kernelIN3c107complexIdEEEEvN5torch10headeronly6detail27GenericPackedTensorAccessorINS8_14TensorAccessorINS3_8ArrayRefIlEET_Lm4ENS7_16DefaultPtrTraitsElEENS_6detail16IndexBoundsCheckILm5ElEESD_Lm5ESE_lEENS9_INSA_ISC_KSD_Lm4ESE_lEESI_SK_Lm5ESE_lEEiiiii,"axG",@progbits,_ZN2at6native12_GLOBAL__N_131replication_pad_backward_kernelIN3c107complexIdEEEEvN5torch10headeronly6detail27GenericPackedTensorAccessorINS8_14TensorAccessorINS3_8ArrayRefIlEET_Lm4ENS7_16DefaultPtrTraitsElEENS_6detail16IndexBoundsCheckILm5ElEESD_Lm5ESE_lEENS9_INSA_ISC_KSD_Lm4ESE_lEESI_SK_Lm5ESE_lEEiiiii,comdat
	.globl	_ZN2at6native12_GLOBAL__N_131replication_pad_backward_kernelIN3c107complexIdEEEEvN5torch10headeronly6detail27GenericPackedTensorAccessorINS8_14TensorAccessorINS3_8ArrayRefIlEET_Lm4ENS7_16DefaultPtrTraitsElEENS_6detail16IndexBoundsCheckILm5ElEESD_Lm5ESE_lEENS9_INSA_ISC_KSD_Lm4ESE_lEESI_SK_Lm5ESE_lEEiiiii ; -- Begin function _ZN2at6native12_GLOBAL__N_131replication_pad_backward_kernelIN3c107complexIdEEEEvN5torch10headeronly6detail27GenericPackedTensorAccessorINS8_14TensorAccessorINS3_8ArrayRefIlEET_Lm4ENS7_16DefaultPtrTraitsElEENS_6detail16IndexBoundsCheckILm5ElEESD_Lm5ESE_lEENS9_INSA_ISC_KSD_Lm4ESE_lEESI_SK_Lm5ESE_lEEiiiii
	.p2align	8
	.type	_ZN2at6native12_GLOBAL__N_131replication_pad_backward_kernelIN3c107complexIdEEEEvN5torch10headeronly6detail27GenericPackedTensorAccessorINS8_14TensorAccessorINS3_8ArrayRefIlEET_Lm4ENS7_16DefaultPtrTraitsElEENS_6detail16IndexBoundsCheckILm5ElEESD_Lm5ESE_lEENS9_INSA_ISC_KSD_Lm4ESE_lEESI_SK_Lm5ESE_lEEiiiii,@function
_ZN2at6native12_GLOBAL__N_131replication_pad_backward_kernelIN3c107complexIdEEEEvN5torch10headeronly6detail27GenericPackedTensorAccessorINS8_14TensorAccessorINS3_8ArrayRefIlEET_Lm4ENS7_16DefaultPtrTraitsElEENS_6detail16IndexBoundsCheckILm5ElEESD_Lm5ESE_lEENS9_INSA_ISC_KSD_Lm4ESE_lEESI_SK_Lm5ESE_lEEiiiii: ; @_ZN2at6native12_GLOBAL__N_131replication_pad_backward_kernelIN3c107complexIdEEEEvN5torch10headeronly6detail27GenericPackedTensorAccessorINS8_14TensorAccessorINS3_8ArrayRefIlEET_Lm4ENS7_16DefaultPtrTraitsElEENS_6detail16IndexBoundsCheckILm5ElEESD_Lm5ESE_lEENS9_INSA_ISC_KSD_Lm4ESE_lEESI_SK_Lm5ESE_lEEiiiii
; %bb.0:
	s_load_b32 s2, s[0:1], 0xd4
	s_bfe_u32 s4, ttmp6, 0x4000c
	s_and_b32 s10, ttmp6, 15
	s_add_co_i32 s11, s4, 1
	s_clause 0x1
	s_load_b128 s[4:7], s[0:1], 0x70
	s_load_b64 s[8:9], s[0:1], 0x80
	s_mul_i32 s11, ttmp9, s11
	s_getreg_b32 s3, hwreg(HW_REG_IB_STS2, 6, 4)
	s_add_co_i32 s10, s10, s11
	s_wait_kmcnt 0x0
	s_and_b32 s2, s2, 0xffff
	s_cmp_eq_u32 s3, 0
	s_cselect_b32 s10, ttmp9, s10
	s_delay_alu instid0(SALU_CYCLE_1) | instskip(SKIP_3) | instid1(VALU_DEP_1)
	v_mad_u32 v0, s10, s2, v0
	s_mul_u64 s[10:11], s[8:9], s[6:7]
	s_mov_b32 s2, exec_lo
	s_mul_u64 s[4:5], s[10:11], s[4:5]
	v_ashrrev_i32_e32 v1, 31, v0
	s_delay_alu instid0(VALU_DEP_1)
	v_cmpx_gt_i64_e64 s[4:5], v[0:1]
	s_cbranch_execz .LBB8_14
; %bb.1:
	v_dual_mov_b32 v6, 0 :: v_dual_bitop2_b32 v7, s9, v1 bitop3:0x54
	v_ashrrev_i32_e32 v2, 31, v1
                                        ; implicit-def: $vgpr4_vgpr5
	s_mov_b32 s2, exec_lo
	s_delay_alu instid0(VALU_DEP_2)
	v_cmpx_ne_u64_e32 0, v[6:7]
	s_xor_b32 s14, exec_lo, s2
	s_cbranch_execz .LBB8_3
; %bb.2:
	s_ashr_i32 s4, s9, 31
	s_mov_b32 s23, 0
	s_mov_b32 s5, s4
	v_dual_mov_b32 v3, v2 :: v_dual_mov_b32 v9, v6
	s_add_nc_u64 s[12:13], s[8:9], s[4:5]
	v_mov_b32_e32 v7, v6
	s_xor_b64 s[12:13], s[12:13], s[4:5]
	s_delay_alu instid0(VALU_DEP_2) | instskip(SKIP_4) | instid1(SALU_CYCLE_1)
	v_add_nc_u64_e32 v[4:5], v[0:1], v[2:3]
	s_cvt_f32_u32 s2, s12
	s_cvt_f32_u32 s5, s13
	s_sub_nc_u64 s[18:19], 0, s[12:13]
	v_dual_mov_b32 v11, v6 :: v_dual_mov_b32 v17, v6
	s_fmamk_f32 s2, s5, 0x4f800000, s2
	s_delay_alu instid0(VALU_DEP_2) | instskip(SKIP_1) | instid1(SALU_CYCLE_1)
	v_xor_b32_e32 v8, v4, v2
	v_xor_b32_e32 v10, v5, v2
	v_s_rcp_f32 s2, s2
	s_delay_alu instid0(TRANS32_DEP_1) | instskip(NEXT) | instid1(SALU_CYCLE_3)
	s_mul_f32 s2, s2, 0x5f7ffffc
	s_mul_f32 s5, s2, 0x2f800000
	s_delay_alu instid0(SALU_CYCLE_3) | instskip(NEXT) | instid1(SALU_CYCLE_3)
	s_trunc_f32 s5, s5
	s_fmamk_f32 s2, s5, 0xcf800000, s2
	s_cvt_u32_f32 s17, s5
	s_delay_alu instid0(SALU_CYCLE_2) | instskip(NEXT) | instid1(SALU_CYCLE_3)
	s_cvt_u32_f32 s16, s2
	s_mul_u64 s[20:21], s[18:19], s[16:17]
	s_delay_alu instid0(SALU_CYCLE_1)
	s_mul_hi_u32 s25, s16, s21
	s_mul_i32 s24, s16, s21
	s_mul_hi_u32 s22, s16, s20
	s_mul_i32 s5, s17, s20
	s_add_nc_u64 s[24:25], s[22:23], s[24:25]
	s_mul_hi_u32 s2, s17, s20
	s_mul_hi_u32 s15, s17, s21
	s_add_co_u32 s5, s24, s5
	s_add_co_ci_u32 s22, s25, s2
	s_mul_i32 s20, s17, s21
	s_add_co_ci_u32 s21, s15, 0
	s_delay_alu instid0(SALU_CYCLE_1) | instskip(NEXT) | instid1(SALU_CYCLE_1)
	s_add_nc_u64 s[20:21], s[22:23], s[20:21]
	s_add_co_u32 s16, s16, s20
	s_cselect_b32 s2, -1, 0
	s_delay_alu instid0(SALU_CYCLE_1) | instskip(SKIP_1) | instid1(SALU_CYCLE_1)
	s_cmp_lg_u32 s2, 0
	s_add_co_ci_u32 s17, s17, s21
	s_mul_u64 s[18:19], s[18:19], s[16:17]
	s_delay_alu instid0(SALU_CYCLE_1)
	s_mul_hi_u32 s21, s16, s19
	s_mul_i32 s20, s16, s19
	s_mul_hi_u32 s22, s16, s18
	s_mul_i32 s5, s17, s18
	s_add_nc_u64 s[20:21], s[22:23], s[20:21]
	s_mul_hi_u32 s2, s17, s18
	s_mul_hi_u32 s15, s17, s19
	s_add_co_u32 s5, s20, s5
	s_add_co_ci_u32 s22, s21, s2
	s_mul_i32 s18, s17, s19
	s_add_co_ci_u32 s19, s15, 0
	s_delay_alu instid0(SALU_CYCLE_1) | instskip(NEXT) | instid1(SALU_CYCLE_1)
	s_add_nc_u64 s[18:19], s[22:23], s[18:19]
	s_add_co_u32 s2, s16, s18
	s_cselect_b32 s5, -1, 0
	v_nop
	v_mul_hi_u32 v16, v8, s2
	s_cmp_lg_u32 s5, 0
	s_add_co_ci_u32 s22, s17, s19
	s_mov_b64 s[16:17], 0xffffffff
	v_mul_u64_e32 v[12:13], s[22:23], v[8:9]
	s_and_b64 s[16:17], s[2:3], s[16:17]
	v_mul_u64_e32 v[14:15], s[22:23], v[10:11]
	v_mul_u64_e32 v[4:5], s[16:17], v[10:11]
	s_delay_alu instid0(VALU_DEP_3) | instskip(NEXT) | instid1(VALU_DEP_1)
	v_add_nc_u64_e32 v[12:13], v[16:17], v[12:13]
	v_add_co_u32 v3, vcc_lo, v12, v4
	s_delay_alu instid0(VALU_DEP_2) | instskip(SKIP_1) | instid1(VALU_DEP_1)
	v_add_co_ci_u32_e32 v6, vcc_lo, v13, v5, vcc_lo
	v_add_co_ci_u32_e32 v15, vcc_lo, 0, v15, vcc_lo
	v_add_nc_u64_e32 v[4:5], v[6:7], v[14:15]
	s_delay_alu instid0(VALU_DEP_1) | instskip(NEXT) | instid1(VALU_DEP_1)
	v_mul_u64_e32 v[6:7], s[12:13], v[4:5]
	v_sub_nc_u32_e32 v3, v10, v7
	s_delay_alu instid0(VALU_DEP_2) | instskip(NEXT) | instid1(VALU_DEP_1)
	v_sub_co_u32 v6, vcc_lo, v8, v6
	v_sub_co_ci_u32_e64 v10, null, v10, v7, vcc_lo
	s_delay_alu instid0(VALU_DEP_3) | instskip(NEXT) | instid1(VALU_DEP_3)
	v_subrev_co_ci_u32_e64 v3, null, s13, v3, vcc_lo
	v_sub_co_u32 v8, s2, v6, s12
	s_delay_alu instid0(VALU_DEP_1) | instskip(NEXT) | instid1(VALU_DEP_2)
	v_subrev_co_ci_u32_e64 v3, null, 0, v3, s2
	v_cmp_le_u32_e32 vcc_lo, s12, v8
	v_cndmask_b32_e64 v7, 0, -1, vcc_lo
	s_delay_alu instid0(VALU_DEP_3)
	v_cmp_le_u32_e32 vcc_lo, s13, v3
	v_cndmask_b32_e64 v8, 0, -1, vcc_lo
	v_cmp_le_u32_e32 vcc_lo, s12, v6
	v_cndmask_b32_e64 v11, 0, -1, vcc_lo
	;; [unrolled: 2-line block ×3, first 2 shown]
	v_cmp_eq_u32_e32 vcc_lo, s13, v3
	v_cndmask_b32_e32 v3, v8, v7, vcc_lo
	v_cmp_eq_u32_e32 vcc_lo, s13, v10
	v_add_nc_u64_e32 v[6:7], 2, v[4:5]
	v_add_nc_u64_e32 v[8:9], 1, v[4:5]
	v_cndmask_b32_e32 v10, v12, v11, vcc_lo
	v_cmp_ne_u32_e32 vcc_lo, 0, v3
	s_delay_alu instid0(VALU_DEP_2) | instskip(NEXT) | instid1(VALU_DEP_4)
	v_cmp_ne_u32_e64 s2, 0, v10
	v_dual_cndmask_b32 v3, v9, v7, vcc_lo :: v_dual_cndmask_b32 v7, v8, v6, vcc_lo
	s_delay_alu instid0(VALU_DEP_1) | instskip(NEXT) | instid1(VALU_DEP_1)
	v_dual_cndmask_b32 v4, v4, v7, s2 :: v_dual_bitop2_b32 v6, s4, v2 bitop3:0x14
	v_dual_cndmask_b32 v3, v5, v3, s2 :: v_dual_mov_b32 v7, v6
	s_delay_alu instid0(VALU_DEP_2) | instskip(NEXT) | instid1(VALU_DEP_2)
	v_xor_b32_e32 v4, v4, v6
	v_xor_b32_e32 v5, v3, v6
	s_delay_alu instid0(VALU_DEP_1)
	v_sub_nc_u64_e32 v[4:5], v[4:5], v[6:7]
.LBB8_3:
	s_and_not1_saveexec_b32 s2, s14
	s_cbranch_execz .LBB8_5
; %bb.4:
	v_cvt_f32_u32_e32 v3, s8
	s_sub_co_i32 s4, 0, s8
	s_delay_alu instid0(VALU_DEP_1) | instskip(SKIP_1) | instid1(TRANS32_DEP_1)
	v_rcp_iflag_f32_e32 v3, v3
	v_nop
	v_mul_f32_e32 v3, 0x4f7ffffe, v3
	s_delay_alu instid0(VALU_DEP_1) | instskip(NEXT) | instid1(VALU_DEP_1)
	v_cvt_u32_f32_e32 v3, v3
	v_mul_lo_u32 v4, s4, v3
	s_delay_alu instid0(VALU_DEP_1) | instskip(NEXT) | instid1(VALU_DEP_1)
	v_mul_hi_u32 v4, v3, v4
	v_add_nc_u32_e32 v3, v3, v4
	s_delay_alu instid0(VALU_DEP_1) | instskip(NEXT) | instid1(VALU_DEP_1)
	v_mul_hi_u32 v3, v0, v3
	v_mul_lo_u32 v4, v3, s8
	s_delay_alu instid0(VALU_DEP_1) | instskip(NEXT) | instid1(VALU_DEP_1)
	v_dual_add_nc_u32 v5, 1, v3 :: v_dual_sub_nc_u32 v4, v0, v4
	v_subrev_nc_u32_e32 v6, s8, v4
	v_cmp_le_u32_e32 vcc_lo, s8, v4
	s_delay_alu instid0(VALU_DEP_2) | instskip(NEXT) | instid1(VALU_DEP_1)
	v_dual_cndmask_b32 v4, v4, v6 :: v_dual_cndmask_b32 v3, v3, v5
	v_cmp_le_u32_e32 vcc_lo, s8, v4
	s_delay_alu instid0(VALU_DEP_2) | instskip(NEXT) | instid1(VALU_DEP_1)
	v_add_nc_u32_e32 v5, 1, v3
	v_dual_cndmask_b32 v4, v3, v5 :: v_dual_mov_b32 v5, 0
.LBB8_5:
	s_or_b32 exec_lo, exec_lo, s2
	s_delay_alu instid0(VALU_DEP_1) | instskip(SKIP_1) | instid1(VALU_DEP_1)
	v_dual_mov_b32 v8, 0 :: v_dual_bitop2_b32 v9, s7, v5 bitop3:0x54
                                        ; implicit-def: $vgpr6_vgpr7
	s_mov_b32 s2, exec_lo
	v_cmpx_ne_u64_e32 0, v[8:9]
	s_xor_b32 s12, exec_lo, s2
	s_cbranch_execz .LBB8_7
; %bb.6:
	s_ashr_i32 s4, s7, 31
	s_mov_b32 s21, 0
	s_mov_b32 s5, s4
	v_dual_mov_b32 v13, v8 :: v_dual_ashrrev_i32 v6, 31, v5
	s_add_nc_u64 s[14:15], s[6:7], s[4:5]
	v_mov_b32_e32 v15, v8
	s_xor_b64 s[4:5], s[14:15], s[4:5]
	s_delay_alu instid0(VALU_DEP_2)
	v_mov_b32_e32 v7, v6
	s_cvt_f32_u32 s2, s4
	s_cvt_f32_u32 s7, s5
	s_sub_nc_u64 s[16:17], 0, s[4:5]
	v_mov_b32_e32 v21, v8
	v_add_nc_u64_e32 v[10:11], v[4:5], v[6:7]
	s_fmamk_f32 s2, s7, 0x4f800000, s2
	v_mov_b32_e32 v9, v8
	s_delay_alu instid0(SALU_CYCLE_2) | instskip(NEXT) | instid1(VALU_DEP_2)
	v_s_rcp_f32 s2, s2
	v_xor_b32_e32 v12, v10, v6
	s_delay_alu instid0(VALU_DEP_3) | instskip(NEXT) | instid1(TRANS32_DEP_1)
	v_xor_b32_e32 v14, v11, v6
	s_mul_f32 s2, s2, 0x5f7ffffc
	s_delay_alu instid0(SALU_CYCLE_3) | instskip(NEXT) | instid1(SALU_CYCLE_3)
	s_mul_f32 s7, s2, 0x2f800000
	s_trunc_f32 s7, s7
	s_delay_alu instid0(SALU_CYCLE_3) | instskip(SKIP_1) | instid1(SALU_CYCLE_2)
	s_fmamk_f32 s2, s7, 0xcf800000, s2
	s_cvt_u32_f32 s15, s7
	s_cvt_u32_f32 s14, s2
	s_delay_alu instid0(SALU_CYCLE_3) | instskip(NEXT) | instid1(SALU_CYCLE_1)
	s_mul_u64 s[18:19], s[16:17], s[14:15]
	s_mul_hi_u32 s23, s14, s19
	s_mul_i32 s22, s14, s19
	s_mul_hi_u32 s20, s14, s18
	s_mul_i32 s7, s15, s18
	s_add_nc_u64 s[22:23], s[20:21], s[22:23]
	s_mul_hi_u32 s2, s15, s18
	s_mul_hi_u32 s13, s15, s19
	s_add_co_u32 s7, s22, s7
	s_add_co_ci_u32 s20, s23, s2
	s_mul_i32 s18, s15, s19
	s_add_co_ci_u32 s19, s13, 0
	s_delay_alu instid0(SALU_CYCLE_1) | instskip(NEXT) | instid1(SALU_CYCLE_1)
	s_add_nc_u64 s[18:19], s[20:21], s[18:19]
	s_add_co_u32 s14, s14, s18
	s_cselect_b32 s2, -1, 0
	s_delay_alu instid0(SALU_CYCLE_1) | instskip(SKIP_1) | instid1(SALU_CYCLE_1)
	s_cmp_lg_u32 s2, 0
	s_add_co_ci_u32 s15, s15, s19
	s_mul_u64 s[16:17], s[16:17], s[14:15]
	s_delay_alu instid0(SALU_CYCLE_1)
	s_mul_hi_u32 s19, s14, s17
	s_mul_i32 s18, s14, s17
	s_mul_hi_u32 s20, s14, s16
	s_mul_i32 s7, s15, s16
	s_add_nc_u64 s[18:19], s[20:21], s[18:19]
	s_mul_hi_u32 s2, s15, s16
	s_mul_hi_u32 s13, s15, s17
	s_add_co_u32 s7, s18, s7
	s_add_co_ci_u32 s20, s19, s2
	s_mul_i32 s16, s15, s17
	s_add_co_ci_u32 s17, s13, 0
	s_delay_alu instid0(SALU_CYCLE_1) | instskip(NEXT) | instid1(SALU_CYCLE_1)
	s_add_nc_u64 s[16:17], s[20:21], s[16:17]
	s_add_co_u32 s2, s14, s16
	s_cselect_b32 s7, -1, 0
	v_mul_hi_u32 v20, v12, s2
	s_cmp_lg_u32 s7, 0
	s_add_co_ci_u32 s20, s15, s17
	s_mov_b64 s[14:15], 0xffffffff
	v_mul_u64_e32 v[16:17], s[20:21], v[12:13]
	s_and_b64 s[14:15], s[2:3], s[14:15]
	v_mul_u64_e32 v[18:19], s[20:21], v[14:15]
	v_mul_u64_e32 v[10:11], s[14:15], v[14:15]
	s_delay_alu instid0(VALU_DEP_3) | instskip(NEXT) | instid1(VALU_DEP_1)
	v_add_nc_u64_e32 v[16:17], v[20:21], v[16:17]
	v_add_co_u32 v3, vcc_lo, v16, v10
	s_delay_alu instid0(VALU_DEP_2) | instskip(SKIP_1) | instid1(VALU_DEP_1)
	v_add_co_ci_u32_e32 v8, vcc_lo, v17, v11, vcc_lo
	v_add_co_ci_u32_e32 v19, vcc_lo, 0, v19, vcc_lo
	v_add_nc_u64_e32 v[8:9], v[8:9], v[18:19]
	s_delay_alu instid0(VALU_DEP_1) | instskip(NEXT) | instid1(VALU_DEP_1)
	v_mul_u64_e32 v[8:9], s[4:5], v[8:9]
	v_sub_co_u32 v8, vcc_lo, v12, v8
	s_delay_alu instid0(VALU_DEP_1) | instskip(NEXT) | instid1(VALU_DEP_1)
	v_cmp_le_u32_e64 s2, s4, v8
	v_cndmask_b32_e64 v12, 0, -1, s2
	s_delay_alu instid0(VALU_DEP_4) | instskip(SKIP_1) | instid1(VALU_DEP_2)
	v_sub_nc_u32_e32 v3, v14, v9
	v_sub_co_ci_u32_e64 v9, null, v14, v9, vcc_lo
	v_subrev_co_ci_u32_e64 v3, null, s5, v3, vcc_lo
	v_sub_co_u32 v10, vcc_lo, v8, s4
	s_delay_alu instid0(VALU_DEP_1) | instskip(NEXT) | instid1(VALU_DEP_2)
	v_subrev_co_ci_u32_e64 v11, null, 0, v3, vcc_lo
	v_cmp_le_u32_e64 s2, s4, v10
	v_subrev_co_ci_u32_e64 v3, null, s5, v3, vcc_lo
	v_cmp_le_u32_e32 vcc_lo, s5, v9
	s_delay_alu instid0(VALU_DEP_3) | instskip(SKIP_3) | instid1(VALU_DEP_3)
	v_cndmask_b32_e64 v13, 0, -1, s2
	v_cmp_le_u32_e64 s2, s5, v11
	v_cndmask_b32_e64 v15, 0, -1, vcc_lo
	v_cmp_eq_u32_e32 vcc_lo, s5, v11
	v_cndmask_b32_e64 v14, 0, -1, s2
	v_cmp_eq_u32_e64 s2, s5, v9
	s_delay_alu instid0(VALU_DEP_2) | instskip(SKIP_1) | instid1(VALU_DEP_1)
	v_cndmask_b32_e32 v13, v14, v13, vcc_lo
	v_sub_co_u32 v14, vcc_lo, v10, s4
	v_subrev_co_ci_u32_e64 v3, null, 0, v3, vcc_lo
	s_delay_alu instid0(VALU_DEP_3) | instskip(SKIP_1) | instid1(VALU_DEP_3)
	v_cmp_ne_u32_e32 vcc_lo, 0, v13
	v_cndmask_b32_e64 v12, v15, v12, s2
	v_dual_cndmask_b32 v3, v11, v3 :: v_dual_cndmask_b32 v10, v10, v14
	s_delay_alu instid0(VALU_DEP_2) | instskip(NEXT) | instid1(VALU_DEP_2)
	v_cmp_ne_u32_e32 vcc_lo, 0, v12
	v_dual_cndmask_b32 v3, v9, v3 :: v_dual_cndmask_b32 v8, v8, v10
	s_delay_alu instid0(VALU_DEP_1) | instskip(NEXT) | instid1(VALU_DEP_2)
	v_xor_b32_e32 v9, v3, v6
	v_xor_b32_e32 v8, v8, v6
	s_delay_alu instid0(VALU_DEP_1)
	v_sub_nc_u64_e32 v[6:7], v[8:9], v[6:7]
.LBB8_7:
	s_and_not1_saveexec_b32 s2, s12
	s_cbranch_execz .LBB8_9
; %bb.8:
	v_cvt_f32_u32_e32 v3, s6
	s_sub_co_i32 s4, 0, s6
	s_delay_alu instid0(VALU_DEP_1) | instskip(SKIP_1) | instid1(TRANS32_DEP_1)
	v_rcp_iflag_f32_e32 v3, v3
	v_nop
	v_mul_f32_e32 v3, 0x4f7ffffe, v3
	s_delay_alu instid0(VALU_DEP_1) | instskip(NEXT) | instid1(VALU_DEP_1)
	v_cvt_u32_f32_e32 v3, v3
	v_mul_lo_u32 v6, s4, v3
	s_delay_alu instid0(VALU_DEP_1) | instskip(NEXT) | instid1(VALU_DEP_1)
	v_mul_hi_u32 v6, v3, v6
	v_add_nc_u32_e32 v3, v3, v6
	s_delay_alu instid0(VALU_DEP_1) | instskip(NEXT) | instid1(VALU_DEP_1)
	v_mul_hi_u32 v3, v4, v3
	v_mul_lo_u32 v3, v3, s6
	s_delay_alu instid0(VALU_DEP_1) | instskip(NEXT) | instid1(VALU_DEP_1)
	v_sub_nc_u32_e32 v3, v4, v3
	v_subrev_nc_u32_e32 v6, s6, v3
	v_cmp_le_u32_e32 vcc_lo, s6, v3
	s_delay_alu instid0(VALU_DEP_2) | instskip(NEXT) | instid1(VALU_DEP_1)
	v_cndmask_b32_e32 v3, v3, v6, vcc_lo
	v_subrev_nc_u32_e32 v6, s6, v3
	v_cmp_le_u32_e32 vcc_lo, s6, v3
	s_delay_alu instid0(VALU_DEP_2)
	v_cndmask_b32_e32 v6, v3, v6, vcc_lo
.LBB8_9:
	s_or_b32 exec_lo, exec_lo, s2
	v_dual_mov_b32 v10, 0 :: v_dual_bitop2_b32 v11, s11, v1 bitop3:0x54
                                        ; implicit-def: $vgpr8_vgpr9
	s_mov_b32 s2, exec_lo
	s_delay_alu instid0(VALU_DEP_1)
	v_cmpx_ne_u64_e32 0, v[10:11]
	s_xor_b32 s12, exec_lo, s2
	s_cbranch_execz .LBB8_11
; %bb.10:
	s_ashr_i32 s4, s11, 31
	s_mov_b32 s21, 0
	s_mov_b32 s5, s4
	v_dual_mov_b32 v3, v2 :: v_dual_mov_b32 v13, v10
	s_add_nc_u64 s[6:7], s[10:11], s[4:5]
	v_mov_b32_e32 v11, v10
	s_xor_b64 s[6:7], s[6:7], s[4:5]
	s_delay_alu instid0(VALU_DEP_2) | instskip(SKIP_4) | instid1(SALU_CYCLE_1)
	v_add_nc_u64_e32 v[8:9], v[0:1], v[2:3]
	s_cvt_f32_u32 s2, s6
	s_cvt_f32_u32 s5, s7
	s_sub_nc_u64 s[16:17], 0, s[6:7]
	v_dual_mov_b32 v15, v10 :: v_dual_mov_b32 v21, v10
	s_fmamk_f32 s2, s5, 0x4f800000, s2
	s_delay_alu instid0(VALU_DEP_2) | instskip(SKIP_3) | instid1(TRANS32_DEP_1)
	v_xor_b32_e32 v12, v8, v2
	v_xor_b32_e32 v14, v9, v2
	;; [unrolled: 1-line block ×3, first 2 shown]
	v_s_rcp_f32 s2, s2
	s_mul_f32 s2, s2, 0x5f7ffffc
	s_delay_alu instid0(SALU_CYCLE_3) | instskip(NEXT) | instid1(SALU_CYCLE_3)
	s_mul_f32 s5, s2, 0x2f800000
	s_trunc_f32 s5, s5
	s_delay_alu instid0(SALU_CYCLE_3) | instskip(SKIP_1) | instid1(SALU_CYCLE_2)
	s_fmamk_f32 s2, s5, 0xcf800000, s2
	s_cvt_u32_f32 s15, s5
	s_cvt_u32_f32 s14, s2
	s_delay_alu instid0(SALU_CYCLE_3) | instskip(NEXT) | instid1(SALU_CYCLE_1)
	s_mul_u64 s[18:19], s[16:17], s[14:15]
	s_mul_hi_u32 s23, s14, s19
	s_mul_i32 s22, s14, s19
	s_mul_hi_u32 s20, s14, s18
	s_mul_i32 s5, s15, s18
	s_add_nc_u64 s[22:23], s[20:21], s[22:23]
	s_mul_hi_u32 s2, s15, s18
	s_mul_hi_u32 s11, s15, s19
	s_add_co_u32 s5, s22, s5
	s_add_co_ci_u32 s20, s23, s2
	s_mul_i32 s18, s15, s19
	s_add_co_ci_u32 s19, s11, 0
	s_delay_alu instid0(SALU_CYCLE_1) | instskip(NEXT) | instid1(SALU_CYCLE_1)
	s_add_nc_u64 s[18:19], s[20:21], s[18:19]
	s_add_co_u32 s14, s14, s18
	s_cselect_b32 s2, -1, 0
	s_delay_alu instid0(SALU_CYCLE_1) | instskip(SKIP_1) | instid1(SALU_CYCLE_1)
	s_cmp_lg_u32 s2, 0
	s_add_co_ci_u32 s15, s15, s19
	s_mul_u64 s[16:17], s[16:17], s[14:15]
	s_delay_alu instid0(SALU_CYCLE_1)
	s_mul_hi_u32 s19, s14, s17
	s_mul_i32 s18, s14, s17
	s_mul_hi_u32 s20, s14, s16
	s_mul_i32 s5, s15, s16
	s_add_nc_u64 s[18:19], s[20:21], s[18:19]
	s_mul_hi_u32 s2, s15, s16
	s_mul_hi_u32 s11, s15, s17
	s_add_co_u32 s5, s18, s5
	s_add_co_ci_u32 s20, s19, s2
	s_mul_i32 s16, s15, s17
	s_add_co_ci_u32 s17, s11, 0
	s_delay_alu instid0(SALU_CYCLE_1) | instskip(NEXT) | instid1(SALU_CYCLE_1)
	s_add_nc_u64 s[16:17], s[20:21], s[16:17]
	s_add_co_u32 s2, s14, s16
	s_cselect_b32 s5, -1, 0
	v_nop
	v_mul_hi_u32 v20, v12, s2
	s_cmp_lg_u32 s5, 0
	s_add_co_ci_u32 s20, s15, s17
	s_mov_b64 s[14:15], 0xffffffff
	v_mul_u64_e32 v[16:17], s[20:21], v[12:13]
	s_and_b64 s[14:15], s[2:3], s[14:15]
	v_mul_u64_e32 v[18:19], s[20:21], v[14:15]
	v_mul_u64_e32 v[8:9], s[14:15], v[14:15]
	s_delay_alu instid0(VALU_DEP_3) | instskip(NEXT) | instid1(VALU_DEP_1)
	v_add_nc_u64_e32 v[16:17], v[20:21], v[16:17]
	v_add_co_u32 v3, vcc_lo, v16, v8
	s_delay_alu instid0(VALU_DEP_2) | instskip(SKIP_1) | instid1(VALU_DEP_1)
	v_add_co_ci_u32_e32 v10, vcc_lo, v17, v9, vcc_lo
	v_add_co_ci_u32_e32 v19, vcc_lo, 0, v19, vcc_lo
	v_add_nc_u64_e32 v[8:9], v[10:11], v[18:19]
	s_delay_alu instid0(VALU_DEP_1) | instskip(NEXT) | instid1(VALU_DEP_1)
	v_mul_u64_e32 v[10:11], s[6:7], v[8:9]
	v_sub_co_u32 v7, vcc_lo, v12, v10
	v_add_nc_u64_e32 v[12:13], 1, v[8:9]
	s_delay_alu instid0(VALU_DEP_3) | instskip(SKIP_1) | instid1(VALU_DEP_4)
	v_sub_nc_u32_e32 v3, v14, v11
	v_sub_co_ci_u32_e64 v14, null, v14, v11, vcc_lo
	v_sub_co_u32 v10, s2, v7, s6
	s_delay_alu instid0(VALU_DEP_3) | instskip(NEXT) | instid1(VALU_DEP_2)
	v_subrev_co_ci_u32_e64 v3, null, s7, v3, vcc_lo
	v_cmp_le_u32_e32 vcc_lo, s6, v10
	s_delay_alu instid0(VALU_DEP_2) | instskip(SKIP_1) | instid1(VALU_DEP_2)
	v_subrev_co_ci_u32_e64 v3, null, 0, v3, s2
	v_cndmask_b32_e64 v10, 0, -1, vcc_lo
	v_cmp_le_u32_e32 vcc_lo, s7, v3
	v_cndmask_b32_e64 v11, 0, -1, vcc_lo
	v_cmp_le_u32_e32 vcc_lo, s6, v7
	;; [unrolled: 2-line block ×3, first 2 shown]
	v_cndmask_b32_e64 v15, 0, -1, vcc_lo
	v_cmp_eq_u32_e32 vcc_lo, s7, v3
	v_cndmask_b32_e32 v3, v11, v10, vcc_lo
	v_cmp_eq_u32_e32 vcc_lo, s7, v14
	v_add_nc_u64_e32 v[10:11], 2, v[8:9]
	v_cndmask_b32_e32 v7, v15, v7, vcc_lo
	s_delay_alu instid0(VALU_DEP_4) | instskip(NEXT) | instid1(VALU_DEP_2)
	v_cmp_ne_u32_e32 vcc_lo, 0, v3
	v_cmp_ne_u32_e64 s2, 0, v7
	s_delay_alu instid0(VALU_DEP_4) | instskip(NEXT) | instid1(VALU_DEP_1)
	v_dual_cndmask_b32 v3, v13, v11, vcc_lo :: v_dual_cndmask_b32 v7, v12, v10, vcc_lo
	v_dual_cndmask_b32 v9, v9, v3, s2 :: v_dual_mov_b32 v3, v2
	s_delay_alu instid0(VALU_DEP_1) | instskip(NEXT) | instid1(VALU_DEP_1)
	v_dual_cndmask_b32 v7, v8, v7, s2 :: v_dual_bitop2_b32 v9, v9, v2 bitop3:0x14
	v_xor_b32_e32 v8, v7, v2
	s_delay_alu instid0(VALU_DEP_1)
	v_sub_nc_u64_e32 v[8:9], v[8:9], v[2:3]
.LBB8_11:
	s_and_not1_saveexec_b32 s2, s12
	s_cbranch_execz .LBB8_13
; %bb.12:
	v_cvt_f32_u32_e32 v2, s10
	s_sub_co_i32 s4, 0, s10
	s_delay_alu instid0(VALU_DEP_1) | instskip(SKIP_1) | instid1(TRANS32_DEP_1)
	v_rcp_iflag_f32_e32 v2, v2
	v_nop
	v_mul_f32_e32 v2, 0x4f7ffffe, v2
	s_delay_alu instid0(VALU_DEP_1) | instskip(NEXT) | instid1(VALU_DEP_1)
	v_cvt_u32_f32_e32 v2, v2
	v_mul_lo_u32 v3, s4, v2
	s_delay_alu instid0(VALU_DEP_1) | instskip(NEXT) | instid1(VALU_DEP_1)
	v_mul_hi_u32 v3, v2, v3
	v_add_nc_u32_e32 v2, v2, v3
	s_delay_alu instid0(VALU_DEP_1) | instskip(NEXT) | instid1(VALU_DEP_1)
	v_mul_hi_u32 v2, v0, v2
	v_mul_lo_u32 v3, v2, s10
	s_delay_alu instid0(VALU_DEP_1) | instskip(NEXT) | instid1(VALU_DEP_1)
	v_dual_add_nc_u32 v7, 1, v2 :: v_dual_sub_nc_u32 v3, v0, v3
	v_subrev_nc_u32_e32 v8, s10, v3
	v_cmp_le_u32_e32 vcc_lo, s10, v3
	s_delay_alu instid0(VALU_DEP_2) | instskip(NEXT) | instid1(VALU_DEP_1)
	v_dual_cndmask_b32 v3, v3, v8 :: v_dual_cndmask_b32 v2, v2, v7
	v_cmp_le_u32_e32 vcc_lo, s10, v3
	s_delay_alu instid0(VALU_DEP_2) | instskip(NEXT) | instid1(VALU_DEP_1)
	v_add_nc_u32_e32 v7, 1, v2
	v_cndmask_b32_e32 v8, v2, v7, vcc_lo
.LBB8_13:
	s_or_b32 exec_lo, exec_lo, s2
	v_mul_u64_e32 v[2:3], s[8:9], v[4:5]
	s_clause 0x2
	s_load_b256 s[4:11], s[0:1], 0x88
	s_load_b64 s[12:13], s[0:1], 0xa8
	s_load_b128 s[20:23], s[0:1], 0xb0
	v_dual_ashrrev_i32 v9, 31, v8 :: v_dual_ashrrev_i32 v7, 31, v6
	s_load_b32 s2, s[0:1], 0xc0
	s_bfe_u32 s15, ttmp6, 0x40014
	s_lshr_b32 s14, ttmp7, 16
	s_add_co_i32 s15, s15, 1
	s_bfe_u32 s16, ttmp6, 0x40008
	s_mul_i32 s15, s14, s15
	s_delay_alu instid0(SALU_CYCLE_1) | instskip(SKIP_3) | instid1(VALU_DEP_3)
	s_add_co_i32 s16, s16, s15
	s_wait_kmcnt 0x0
	v_mul_u64_e32 v[4:5], s[8:9], v[8:9]
	s_load_b64 s[8:9], s[0:1], 0x58
	v_sub_nc_u64_e32 v[10:11], v[0:1], v[2:3]
	v_mul_u64_e32 v[0:1], s[10:11], v[6:7]
	s_bfe_u32 s10, ttmp6, 0x40010
	s_and_b32 s11, ttmp7, 0xffff
	s_add_co_i32 s10, s10, 1
	s_delay_alu instid0(SALU_CYCLE_1) | instskip(NEXT) | instid1(VALU_DEP_2)
	s_mul_i32 s10, s11, s10
	v_mul_u64_e32 v[2:3], s[12:13], v[10:11]
	s_bfe_u32 s12, ttmp6, 0x40004
	s_delay_alu instid0(SALU_CYCLE_1)
	s_add_co_i32 s12, s12, s10
	s_cmp_eq_u32 s3, 0
	s_cselect_b32 s3, s14, s16
	s_cselect_b32 s10, s11, s12
	s_add_co_i32 s2, s2, s3
	s_add_co_i32 s24, s23, s10
	s_ashr_i32 s3, s2, 31
	s_ashr_i32 s25, s24, 31
	s_mul_u64 s[4:5], s[4:5], s[2:3]
	s_mul_u64 s[6:7], s[6:7], s[24:25]
	s_lshl_b64 s[4:5], s[4:5], 4
	s_lshl_b64 s[6:7], s[6:7], 4
	s_wait_kmcnt 0x0
	s_add_nc_u64 s[4:5], s[8:9], s[4:5]
	s_max_i32 s27, s20, 0
	s_add_nc_u64 s[4:5], s[4:5], s[6:7]
	s_max_i32 s26, s21, 0
	s_delay_alu instid0(VALU_DEP_4)
	v_lshl_add_u64 v[4:5], v[4:5], 4, s[4:5]
	s_load_b512 s[4:19], s[0:1], 0x18
	s_wait_kmcnt 0x0
	s_sub_co_i32 s9, 0, s20
	s_sub_co_i32 s7, 0, s21
	s_max_i32 s9, s9, 0
	s_max_i32 s7, s7, 0
	s_delay_alu instid0(VALU_DEP_3) | instskip(SKIP_4) | instid1(VALU_DEP_3)
	v_lshl_add_u64 v[0:1], v[0:1], 4, v[4:5]
	s_sub_co_i32 s5, 0, s22
	s_max_i32 s23, s22, 0
	s_max_i32 s5, s5, 0
	s_load_b64 s[0:1], s[0:1], 0x0
	v_lshl_add_u64 v[0:1], v[2:3], 4, v[0:1]
	global_load_b128 v[0:3], v[0:1], off
	s_add_co_i32 s4, s20, s4
	s_add_co_i32 s6, s21, s6
	s_add_co_i32 s4, s4, -1
	s_add_co_i32 s6, s6, -1
	v_maxmin_i32 v4, s20, v8, s4
	s_add_co_i32 s4, s22, s8
	s_sub_co_i32 s8, s9, s27
	v_maxmin_i32 v5, s21, v6, s6
	s_sub_co_i32 s6, s7, s26
	v_add_nc_u32_e32 v4, s8, v4
	s_add_co_i32 s4, s4, -1
	s_mul_u64 s[2:3], s[10:11], s[2:3]
	v_maxmin_i32 v7, s22, v10, s4
	v_add_nc_u32_e32 v6, s6, v5
	s_sub_co_i32 s4, s5, s23
	v_ashrrev_i32_e32 v5, 31, v4
	s_lshl_b64 s[2:3], s[2:3], 4
	s_delay_alu instid0(VALU_DEP_2) | instskip(SKIP_1) | instid1(VALU_DEP_2)
	v_dual_add_nc_u32 v8, s4, v7 :: v_dual_ashrrev_i32 v7, 31, v6
	s_mul_u64 s[4:5], s[12:13], s[24:25]
	v_mul_u64_e32 v[4:5], s[14:15], v[4:5]
	s_wait_kmcnt 0x0
	s_add_nc_u64 s[0:1], s[0:1], s[2:3]
	v_ashrrev_i32_e32 v9, 31, v8
	v_mul_u64_e32 v[6:7], s[16:17], v[6:7]
	s_lshl_b64 s[2:3], s[4:5], 4
	s_delay_alu instid0(SALU_CYCLE_1) | instskip(NEXT) | instid1(VALU_DEP_2)
	s_add_nc_u64 s[0:1], s[0:1], s[2:3]
	v_mul_u64_e32 v[8:9], s[18:19], v[8:9]
	s_delay_alu instid0(VALU_DEP_4) | instskip(NEXT) | instid1(VALU_DEP_1)
	v_lshl_add_u64 v[4:5], v[4:5], 4, s[0:1]
	v_lshl_add_u64 v[4:5], v[6:7], 4, v[4:5]
	s_delay_alu instid0(VALU_DEP_1)
	v_lshl_add_u64 v[4:5], v[8:9], 4, v[4:5]
	s_wait_xcnt 0x0
	s_wait_loadcnt 0x0
	global_atomic_add_f64 v[4:5], v[0:1], off scope:SCOPE_DEV
	s_wait_xcnt 0x0
	global_atomic_add_f64 v[4:5], v[2:3], off offset:8 scope:SCOPE_DEV
.LBB8_14:
	s_endpgm
	.section	.rodata,"a",@progbits
	.p2align	6, 0x0
	.amdhsa_kernel _ZN2at6native12_GLOBAL__N_131replication_pad_backward_kernelIN3c107complexIdEEEEvN5torch10headeronly6detail27GenericPackedTensorAccessorINS8_14TensorAccessorINS3_8ArrayRefIlEET_Lm4ENS7_16DefaultPtrTraitsElEENS_6detail16IndexBoundsCheckILm5ElEESD_Lm5ESE_lEENS9_INSA_ISC_KSD_Lm4ESE_lEESI_SK_Lm5ESE_lEEiiiii
		.amdhsa_group_segment_fixed_size 0
		.amdhsa_private_segment_fixed_size 0
		.amdhsa_kernarg_size 456
		.amdhsa_user_sgpr_count 2
		.amdhsa_user_sgpr_dispatch_ptr 0
		.amdhsa_user_sgpr_queue_ptr 0
		.amdhsa_user_sgpr_kernarg_segment_ptr 1
		.amdhsa_user_sgpr_dispatch_id 0
		.amdhsa_user_sgpr_kernarg_preload_length 0
		.amdhsa_user_sgpr_kernarg_preload_offset 0
		.amdhsa_user_sgpr_private_segment_size 0
		.amdhsa_wavefront_size32 1
		.amdhsa_uses_dynamic_stack 0
		.amdhsa_enable_private_segment 0
		.amdhsa_system_sgpr_workgroup_id_x 1
		.amdhsa_system_sgpr_workgroup_id_y 1
		.amdhsa_system_sgpr_workgroup_id_z 1
		.amdhsa_system_sgpr_workgroup_info 0
		.amdhsa_system_vgpr_workitem_id 0
		.amdhsa_next_free_vgpr 22
		.amdhsa_next_free_sgpr 28
		.amdhsa_named_barrier_count 0
		.amdhsa_reserve_vcc 1
		.amdhsa_float_round_mode_32 0
		.amdhsa_float_round_mode_16_64 0
		.amdhsa_float_denorm_mode_32 3
		.amdhsa_float_denorm_mode_16_64 3
		.amdhsa_fp16_overflow 0
		.amdhsa_memory_ordered 1
		.amdhsa_forward_progress 1
		.amdhsa_inst_pref_size 23
		.amdhsa_round_robin_scheduling 0
		.amdhsa_exception_fp_ieee_invalid_op 0
		.amdhsa_exception_fp_denorm_src 0
		.amdhsa_exception_fp_ieee_div_zero 0
		.amdhsa_exception_fp_ieee_overflow 0
		.amdhsa_exception_fp_ieee_underflow 0
		.amdhsa_exception_fp_ieee_inexact 0
		.amdhsa_exception_int_div_zero 0
	.end_amdhsa_kernel
	.section	.text._ZN2at6native12_GLOBAL__N_131replication_pad_backward_kernelIN3c107complexIdEEEEvN5torch10headeronly6detail27GenericPackedTensorAccessorINS8_14TensorAccessorINS3_8ArrayRefIlEET_Lm4ENS7_16DefaultPtrTraitsElEENS_6detail16IndexBoundsCheckILm5ElEESD_Lm5ESE_lEENS9_INSA_ISC_KSD_Lm4ESE_lEESI_SK_Lm5ESE_lEEiiiii,"axG",@progbits,_ZN2at6native12_GLOBAL__N_131replication_pad_backward_kernelIN3c107complexIdEEEEvN5torch10headeronly6detail27GenericPackedTensorAccessorINS8_14TensorAccessorINS3_8ArrayRefIlEET_Lm4ENS7_16DefaultPtrTraitsElEENS_6detail16IndexBoundsCheckILm5ElEESD_Lm5ESE_lEENS9_INSA_ISC_KSD_Lm4ESE_lEESI_SK_Lm5ESE_lEEiiiii,comdat
.Lfunc_end8:
	.size	_ZN2at6native12_GLOBAL__N_131replication_pad_backward_kernelIN3c107complexIdEEEEvN5torch10headeronly6detail27GenericPackedTensorAccessorINS8_14TensorAccessorINS3_8ArrayRefIlEET_Lm4ENS7_16DefaultPtrTraitsElEENS_6detail16IndexBoundsCheckILm5ElEESD_Lm5ESE_lEENS9_INSA_ISC_KSD_Lm4ESE_lEESI_SK_Lm5ESE_lEEiiiii, .Lfunc_end8-_ZN2at6native12_GLOBAL__N_131replication_pad_backward_kernelIN3c107complexIdEEEEvN5torch10headeronly6detail27GenericPackedTensorAccessorINS8_14TensorAccessorINS3_8ArrayRefIlEET_Lm4ENS7_16DefaultPtrTraitsElEENS_6detail16IndexBoundsCheckILm5ElEESD_Lm5ESE_lEENS9_INSA_ISC_KSD_Lm4ESE_lEESI_SK_Lm5ESE_lEEiiiii
                                        ; -- End function
	.set _ZN2at6native12_GLOBAL__N_131replication_pad_backward_kernelIN3c107complexIdEEEEvN5torch10headeronly6detail27GenericPackedTensorAccessorINS8_14TensorAccessorINS3_8ArrayRefIlEET_Lm4ENS7_16DefaultPtrTraitsElEENS_6detail16IndexBoundsCheckILm5ElEESD_Lm5ESE_lEENS9_INSA_ISC_KSD_Lm4ESE_lEESI_SK_Lm5ESE_lEEiiiii.num_vgpr, 22
	.set _ZN2at6native12_GLOBAL__N_131replication_pad_backward_kernelIN3c107complexIdEEEEvN5torch10headeronly6detail27GenericPackedTensorAccessorINS8_14TensorAccessorINS3_8ArrayRefIlEET_Lm4ENS7_16DefaultPtrTraitsElEENS_6detail16IndexBoundsCheckILm5ElEESD_Lm5ESE_lEENS9_INSA_ISC_KSD_Lm4ESE_lEESI_SK_Lm5ESE_lEEiiiii.num_agpr, 0
	.set _ZN2at6native12_GLOBAL__N_131replication_pad_backward_kernelIN3c107complexIdEEEEvN5torch10headeronly6detail27GenericPackedTensorAccessorINS8_14TensorAccessorINS3_8ArrayRefIlEET_Lm4ENS7_16DefaultPtrTraitsElEENS_6detail16IndexBoundsCheckILm5ElEESD_Lm5ESE_lEENS9_INSA_ISC_KSD_Lm4ESE_lEESI_SK_Lm5ESE_lEEiiiii.numbered_sgpr, 28
	.set _ZN2at6native12_GLOBAL__N_131replication_pad_backward_kernelIN3c107complexIdEEEEvN5torch10headeronly6detail27GenericPackedTensorAccessorINS8_14TensorAccessorINS3_8ArrayRefIlEET_Lm4ENS7_16DefaultPtrTraitsElEENS_6detail16IndexBoundsCheckILm5ElEESD_Lm5ESE_lEENS9_INSA_ISC_KSD_Lm4ESE_lEESI_SK_Lm5ESE_lEEiiiii.num_named_barrier, 0
	.set _ZN2at6native12_GLOBAL__N_131replication_pad_backward_kernelIN3c107complexIdEEEEvN5torch10headeronly6detail27GenericPackedTensorAccessorINS8_14TensorAccessorINS3_8ArrayRefIlEET_Lm4ENS7_16DefaultPtrTraitsElEENS_6detail16IndexBoundsCheckILm5ElEESD_Lm5ESE_lEENS9_INSA_ISC_KSD_Lm4ESE_lEESI_SK_Lm5ESE_lEEiiiii.private_seg_size, 0
	.set _ZN2at6native12_GLOBAL__N_131replication_pad_backward_kernelIN3c107complexIdEEEEvN5torch10headeronly6detail27GenericPackedTensorAccessorINS8_14TensorAccessorINS3_8ArrayRefIlEET_Lm4ENS7_16DefaultPtrTraitsElEENS_6detail16IndexBoundsCheckILm5ElEESD_Lm5ESE_lEENS9_INSA_ISC_KSD_Lm4ESE_lEESI_SK_Lm5ESE_lEEiiiii.uses_vcc, 1
	.set _ZN2at6native12_GLOBAL__N_131replication_pad_backward_kernelIN3c107complexIdEEEEvN5torch10headeronly6detail27GenericPackedTensorAccessorINS8_14TensorAccessorINS3_8ArrayRefIlEET_Lm4ENS7_16DefaultPtrTraitsElEENS_6detail16IndexBoundsCheckILm5ElEESD_Lm5ESE_lEENS9_INSA_ISC_KSD_Lm4ESE_lEESI_SK_Lm5ESE_lEEiiiii.uses_flat_scratch, 0
	.set _ZN2at6native12_GLOBAL__N_131replication_pad_backward_kernelIN3c107complexIdEEEEvN5torch10headeronly6detail27GenericPackedTensorAccessorINS8_14TensorAccessorINS3_8ArrayRefIlEET_Lm4ENS7_16DefaultPtrTraitsElEENS_6detail16IndexBoundsCheckILm5ElEESD_Lm5ESE_lEENS9_INSA_ISC_KSD_Lm4ESE_lEESI_SK_Lm5ESE_lEEiiiii.has_dyn_sized_stack, 0
	.set _ZN2at6native12_GLOBAL__N_131replication_pad_backward_kernelIN3c107complexIdEEEEvN5torch10headeronly6detail27GenericPackedTensorAccessorINS8_14TensorAccessorINS3_8ArrayRefIlEET_Lm4ENS7_16DefaultPtrTraitsElEENS_6detail16IndexBoundsCheckILm5ElEESD_Lm5ESE_lEENS9_INSA_ISC_KSD_Lm4ESE_lEESI_SK_Lm5ESE_lEEiiiii.has_recursion, 0
	.set _ZN2at6native12_GLOBAL__N_131replication_pad_backward_kernelIN3c107complexIdEEEEvN5torch10headeronly6detail27GenericPackedTensorAccessorINS8_14TensorAccessorINS3_8ArrayRefIlEET_Lm4ENS7_16DefaultPtrTraitsElEENS_6detail16IndexBoundsCheckILm5ElEESD_Lm5ESE_lEENS9_INSA_ISC_KSD_Lm4ESE_lEESI_SK_Lm5ESE_lEEiiiii.has_indirect_call, 0
	.section	.AMDGPU.csdata,"",@progbits
; Kernel info:
; codeLenInByte = 2920
; TotalNumSgprs: 30
; NumVgprs: 22
; ScratchSize: 0
; MemoryBound: 0
; FloatMode: 240
; IeeeMode: 1
; LDSByteSize: 0 bytes/workgroup (compile time only)
; SGPRBlocks: 0
; VGPRBlocks: 1
; NumSGPRsForWavesPerEU: 30
; NumVGPRsForWavesPerEU: 22
; NamedBarCnt: 0
; Occupancy: 16
; WaveLimiterHint : 1
; COMPUTE_PGM_RSRC2:SCRATCH_EN: 0
; COMPUTE_PGM_RSRC2:USER_SGPR: 2
; COMPUTE_PGM_RSRC2:TRAP_HANDLER: 0
; COMPUTE_PGM_RSRC2:TGID_X_EN: 1
; COMPUTE_PGM_RSRC2:TGID_Y_EN: 1
; COMPUTE_PGM_RSRC2:TGID_Z_EN: 1
; COMPUTE_PGM_RSRC2:TIDIG_COMP_CNT: 0
	.section	.text._ZN2at6native12_GLOBAL__N_131replication_pad_backward_kernelIN3c107complexIfEEEEvN5torch10headeronly6detail27GenericPackedTensorAccessorINS8_14TensorAccessorINS3_8ArrayRefIlEET_Lm4ENS7_16DefaultPtrTraitsElEENS_6detail16IndexBoundsCheckILm5ElEESD_Lm5ESE_lEENS9_INSA_ISC_KSD_Lm4ESE_lEESI_SK_Lm5ESE_lEEiiiii,"axG",@progbits,_ZN2at6native12_GLOBAL__N_131replication_pad_backward_kernelIN3c107complexIfEEEEvN5torch10headeronly6detail27GenericPackedTensorAccessorINS8_14TensorAccessorINS3_8ArrayRefIlEET_Lm4ENS7_16DefaultPtrTraitsElEENS_6detail16IndexBoundsCheckILm5ElEESD_Lm5ESE_lEENS9_INSA_ISC_KSD_Lm4ESE_lEESI_SK_Lm5ESE_lEEiiiii,comdat
	.globl	_ZN2at6native12_GLOBAL__N_131replication_pad_backward_kernelIN3c107complexIfEEEEvN5torch10headeronly6detail27GenericPackedTensorAccessorINS8_14TensorAccessorINS3_8ArrayRefIlEET_Lm4ENS7_16DefaultPtrTraitsElEENS_6detail16IndexBoundsCheckILm5ElEESD_Lm5ESE_lEENS9_INSA_ISC_KSD_Lm4ESE_lEESI_SK_Lm5ESE_lEEiiiii ; -- Begin function _ZN2at6native12_GLOBAL__N_131replication_pad_backward_kernelIN3c107complexIfEEEEvN5torch10headeronly6detail27GenericPackedTensorAccessorINS8_14TensorAccessorINS3_8ArrayRefIlEET_Lm4ENS7_16DefaultPtrTraitsElEENS_6detail16IndexBoundsCheckILm5ElEESD_Lm5ESE_lEENS9_INSA_ISC_KSD_Lm4ESE_lEESI_SK_Lm5ESE_lEEiiiii
	.p2align	8
	.type	_ZN2at6native12_GLOBAL__N_131replication_pad_backward_kernelIN3c107complexIfEEEEvN5torch10headeronly6detail27GenericPackedTensorAccessorINS8_14TensorAccessorINS3_8ArrayRefIlEET_Lm4ENS7_16DefaultPtrTraitsElEENS_6detail16IndexBoundsCheckILm5ElEESD_Lm5ESE_lEENS9_INSA_ISC_KSD_Lm4ESE_lEESI_SK_Lm5ESE_lEEiiiii,@function
_ZN2at6native12_GLOBAL__N_131replication_pad_backward_kernelIN3c107complexIfEEEEvN5torch10headeronly6detail27GenericPackedTensorAccessorINS8_14TensorAccessorINS3_8ArrayRefIlEET_Lm4ENS7_16DefaultPtrTraitsElEENS_6detail16IndexBoundsCheckILm5ElEESD_Lm5ESE_lEENS9_INSA_ISC_KSD_Lm4ESE_lEESI_SK_Lm5ESE_lEEiiiii: ; @_ZN2at6native12_GLOBAL__N_131replication_pad_backward_kernelIN3c107complexIfEEEEvN5torch10headeronly6detail27GenericPackedTensorAccessorINS8_14TensorAccessorINS3_8ArrayRefIlEET_Lm4ENS7_16DefaultPtrTraitsElEENS_6detail16IndexBoundsCheckILm5ElEESD_Lm5ESE_lEENS9_INSA_ISC_KSD_Lm4ESE_lEESI_SK_Lm5ESE_lEEiiiii
; %bb.0:
	s_load_b32 s2, s[0:1], 0xd4
	s_bfe_u32 s4, ttmp6, 0x4000c
	s_and_b32 s10, ttmp6, 15
	s_add_co_i32 s11, s4, 1
	s_clause 0x1
	s_load_b128 s[4:7], s[0:1], 0x70
	s_load_b64 s[8:9], s[0:1], 0x80
	s_mul_i32 s11, ttmp9, s11
	s_getreg_b32 s3, hwreg(HW_REG_IB_STS2, 6, 4)
	s_add_co_i32 s10, s10, s11
	s_wait_kmcnt 0x0
	s_and_b32 s2, s2, 0xffff
	s_cmp_eq_u32 s3, 0
	s_cselect_b32 s10, ttmp9, s10
	s_delay_alu instid0(SALU_CYCLE_1) | instskip(SKIP_3) | instid1(VALU_DEP_1)
	v_mad_u32 v0, s10, s2, v0
	s_mul_u64 s[10:11], s[8:9], s[6:7]
	s_mov_b32 s2, exec_lo
	s_mul_u64 s[4:5], s[10:11], s[4:5]
	v_ashrrev_i32_e32 v1, 31, v0
	s_delay_alu instid0(VALU_DEP_1)
	v_cmpx_gt_i64_e64 s[4:5], v[0:1]
	s_cbranch_execz .LBB9_14
; %bb.1:
	v_dual_mov_b32 v6, 0 :: v_dual_bitop2_b32 v7, s9, v1 bitop3:0x54
	v_ashrrev_i32_e32 v2, 31, v1
                                        ; implicit-def: $vgpr4_vgpr5
	s_mov_b32 s2, exec_lo
	s_delay_alu instid0(VALU_DEP_2)
	v_cmpx_ne_u64_e32 0, v[6:7]
	s_xor_b32 s14, exec_lo, s2
	s_cbranch_execz .LBB9_3
; %bb.2:
	s_ashr_i32 s4, s9, 31
	s_mov_b32 s23, 0
	s_mov_b32 s5, s4
	v_dual_mov_b32 v3, v2 :: v_dual_mov_b32 v9, v6
	s_add_nc_u64 s[12:13], s[8:9], s[4:5]
	v_mov_b32_e32 v7, v6
	s_xor_b64 s[12:13], s[12:13], s[4:5]
	s_delay_alu instid0(VALU_DEP_2) | instskip(SKIP_4) | instid1(SALU_CYCLE_1)
	v_add_nc_u64_e32 v[4:5], v[0:1], v[2:3]
	s_cvt_f32_u32 s2, s12
	s_cvt_f32_u32 s5, s13
	s_sub_nc_u64 s[18:19], 0, s[12:13]
	v_dual_mov_b32 v11, v6 :: v_dual_mov_b32 v17, v6
	s_fmamk_f32 s2, s5, 0x4f800000, s2
	s_delay_alu instid0(VALU_DEP_2) | instskip(SKIP_1) | instid1(SALU_CYCLE_1)
	v_xor_b32_e32 v8, v4, v2
	v_xor_b32_e32 v10, v5, v2
	v_s_rcp_f32 s2, s2
	s_delay_alu instid0(TRANS32_DEP_1) | instskip(NEXT) | instid1(SALU_CYCLE_3)
	s_mul_f32 s2, s2, 0x5f7ffffc
	s_mul_f32 s5, s2, 0x2f800000
	s_delay_alu instid0(SALU_CYCLE_3) | instskip(NEXT) | instid1(SALU_CYCLE_3)
	s_trunc_f32 s5, s5
	s_fmamk_f32 s2, s5, 0xcf800000, s2
	s_cvt_u32_f32 s17, s5
	s_delay_alu instid0(SALU_CYCLE_2) | instskip(NEXT) | instid1(SALU_CYCLE_3)
	s_cvt_u32_f32 s16, s2
	s_mul_u64 s[20:21], s[18:19], s[16:17]
	s_delay_alu instid0(SALU_CYCLE_1)
	s_mul_hi_u32 s25, s16, s21
	s_mul_i32 s24, s16, s21
	s_mul_hi_u32 s22, s16, s20
	s_mul_i32 s5, s17, s20
	s_add_nc_u64 s[24:25], s[22:23], s[24:25]
	s_mul_hi_u32 s2, s17, s20
	s_mul_hi_u32 s15, s17, s21
	s_add_co_u32 s5, s24, s5
	s_add_co_ci_u32 s22, s25, s2
	s_mul_i32 s20, s17, s21
	s_add_co_ci_u32 s21, s15, 0
	s_delay_alu instid0(SALU_CYCLE_1) | instskip(NEXT) | instid1(SALU_CYCLE_1)
	s_add_nc_u64 s[20:21], s[22:23], s[20:21]
	s_add_co_u32 s16, s16, s20
	s_cselect_b32 s2, -1, 0
	s_delay_alu instid0(SALU_CYCLE_1) | instskip(SKIP_1) | instid1(SALU_CYCLE_1)
	s_cmp_lg_u32 s2, 0
	s_add_co_ci_u32 s17, s17, s21
	s_mul_u64 s[18:19], s[18:19], s[16:17]
	s_delay_alu instid0(SALU_CYCLE_1)
	s_mul_hi_u32 s21, s16, s19
	s_mul_i32 s20, s16, s19
	s_mul_hi_u32 s22, s16, s18
	s_mul_i32 s5, s17, s18
	s_add_nc_u64 s[20:21], s[22:23], s[20:21]
	s_mul_hi_u32 s2, s17, s18
	s_mul_hi_u32 s15, s17, s19
	s_add_co_u32 s5, s20, s5
	s_add_co_ci_u32 s22, s21, s2
	s_mul_i32 s18, s17, s19
	s_add_co_ci_u32 s19, s15, 0
	s_delay_alu instid0(SALU_CYCLE_1) | instskip(NEXT) | instid1(SALU_CYCLE_1)
	s_add_nc_u64 s[18:19], s[22:23], s[18:19]
	s_add_co_u32 s2, s16, s18
	s_cselect_b32 s5, -1, 0
	v_nop
	v_mul_hi_u32 v16, v8, s2
	s_cmp_lg_u32 s5, 0
	s_add_co_ci_u32 s22, s17, s19
	s_mov_b64 s[16:17], 0xffffffff
	v_mul_u64_e32 v[12:13], s[22:23], v[8:9]
	s_and_b64 s[16:17], s[2:3], s[16:17]
	v_mul_u64_e32 v[14:15], s[22:23], v[10:11]
	v_mul_u64_e32 v[4:5], s[16:17], v[10:11]
	s_delay_alu instid0(VALU_DEP_3) | instskip(NEXT) | instid1(VALU_DEP_1)
	v_add_nc_u64_e32 v[12:13], v[16:17], v[12:13]
	v_add_co_u32 v3, vcc_lo, v12, v4
	s_delay_alu instid0(VALU_DEP_2) | instskip(SKIP_1) | instid1(VALU_DEP_1)
	v_add_co_ci_u32_e32 v6, vcc_lo, v13, v5, vcc_lo
	v_add_co_ci_u32_e32 v15, vcc_lo, 0, v15, vcc_lo
	v_add_nc_u64_e32 v[4:5], v[6:7], v[14:15]
	s_delay_alu instid0(VALU_DEP_1) | instskip(NEXT) | instid1(VALU_DEP_1)
	v_mul_u64_e32 v[6:7], s[12:13], v[4:5]
	v_sub_nc_u32_e32 v3, v10, v7
	s_delay_alu instid0(VALU_DEP_2) | instskip(NEXT) | instid1(VALU_DEP_1)
	v_sub_co_u32 v6, vcc_lo, v8, v6
	v_sub_co_ci_u32_e64 v10, null, v10, v7, vcc_lo
	s_delay_alu instid0(VALU_DEP_3) | instskip(NEXT) | instid1(VALU_DEP_3)
	v_subrev_co_ci_u32_e64 v3, null, s13, v3, vcc_lo
	v_sub_co_u32 v8, s2, v6, s12
	s_delay_alu instid0(VALU_DEP_1) | instskip(NEXT) | instid1(VALU_DEP_2)
	v_subrev_co_ci_u32_e64 v3, null, 0, v3, s2
	v_cmp_le_u32_e32 vcc_lo, s12, v8
	v_cndmask_b32_e64 v7, 0, -1, vcc_lo
	s_delay_alu instid0(VALU_DEP_3)
	v_cmp_le_u32_e32 vcc_lo, s13, v3
	v_cndmask_b32_e64 v8, 0, -1, vcc_lo
	v_cmp_le_u32_e32 vcc_lo, s12, v6
	v_cndmask_b32_e64 v11, 0, -1, vcc_lo
	;; [unrolled: 2-line block ×3, first 2 shown]
	v_cmp_eq_u32_e32 vcc_lo, s13, v3
	v_cndmask_b32_e32 v3, v8, v7, vcc_lo
	v_cmp_eq_u32_e32 vcc_lo, s13, v10
	v_add_nc_u64_e32 v[6:7], 2, v[4:5]
	v_add_nc_u64_e32 v[8:9], 1, v[4:5]
	v_cndmask_b32_e32 v10, v12, v11, vcc_lo
	v_cmp_ne_u32_e32 vcc_lo, 0, v3
	s_delay_alu instid0(VALU_DEP_2) | instskip(NEXT) | instid1(VALU_DEP_4)
	v_cmp_ne_u32_e64 s2, 0, v10
	v_dual_cndmask_b32 v3, v9, v7, vcc_lo :: v_dual_cndmask_b32 v7, v8, v6, vcc_lo
	s_delay_alu instid0(VALU_DEP_1) | instskip(NEXT) | instid1(VALU_DEP_1)
	v_dual_cndmask_b32 v4, v4, v7, s2 :: v_dual_bitop2_b32 v6, s4, v2 bitop3:0x14
	v_dual_cndmask_b32 v3, v5, v3, s2 :: v_dual_mov_b32 v7, v6
	s_delay_alu instid0(VALU_DEP_2) | instskip(NEXT) | instid1(VALU_DEP_2)
	v_xor_b32_e32 v4, v4, v6
	v_xor_b32_e32 v5, v3, v6
	s_delay_alu instid0(VALU_DEP_1)
	v_sub_nc_u64_e32 v[4:5], v[4:5], v[6:7]
.LBB9_3:
	s_and_not1_saveexec_b32 s2, s14
	s_cbranch_execz .LBB9_5
; %bb.4:
	v_cvt_f32_u32_e32 v3, s8
	s_sub_co_i32 s4, 0, s8
	s_delay_alu instid0(VALU_DEP_1) | instskip(SKIP_1) | instid1(TRANS32_DEP_1)
	v_rcp_iflag_f32_e32 v3, v3
	v_nop
	v_mul_f32_e32 v3, 0x4f7ffffe, v3
	s_delay_alu instid0(VALU_DEP_1) | instskip(NEXT) | instid1(VALU_DEP_1)
	v_cvt_u32_f32_e32 v3, v3
	v_mul_lo_u32 v4, s4, v3
	s_delay_alu instid0(VALU_DEP_1) | instskip(NEXT) | instid1(VALU_DEP_1)
	v_mul_hi_u32 v4, v3, v4
	v_add_nc_u32_e32 v3, v3, v4
	s_delay_alu instid0(VALU_DEP_1) | instskip(NEXT) | instid1(VALU_DEP_1)
	v_mul_hi_u32 v3, v0, v3
	v_mul_lo_u32 v4, v3, s8
	s_delay_alu instid0(VALU_DEP_1) | instskip(NEXT) | instid1(VALU_DEP_1)
	v_dual_add_nc_u32 v5, 1, v3 :: v_dual_sub_nc_u32 v4, v0, v4
	v_subrev_nc_u32_e32 v6, s8, v4
	v_cmp_le_u32_e32 vcc_lo, s8, v4
	s_delay_alu instid0(VALU_DEP_2) | instskip(NEXT) | instid1(VALU_DEP_1)
	v_dual_cndmask_b32 v4, v4, v6 :: v_dual_cndmask_b32 v3, v3, v5
	v_cmp_le_u32_e32 vcc_lo, s8, v4
	s_delay_alu instid0(VALU_DEP_2) | instskip(NEXT) | instid1(VALU_DEP_1)
	v_add_nc_u32_e32 v5, 1, v3
	v_dual_cndmask_b32 v4, v3, v5 :: v_dual_mov_b32 v5, 0
.LBB9_5:
	s_or_b32 exec_lo, exec_lo, s2
	s_delay_alu instid0(VALU_DEP_1) | instskip(SKIP_1) | instid1(VALU_DEP_1)
	v_dual_mov_b32 v8, 0 :: v_dual_bitop2_b32 v9, s7, v5 bitop3:0x54
                                        ; implicit-def: $vgpr6_vgpr7
	s_mov_b32 s2, exec_lo
	v_cmpx_ne_u64_e32 0, v[8:9]
	s_xor_b32 s12, exec_lo, s2
	s_cbranch_execz .LBB9_7
; %bb.6:
	s_ashr_i32 s4, s7, 31
	s_mov_b32 s21, 0
	s_mov_b32 s5, s4
	v_dual_mov_b32 v13, v8 :: v_dual_ashrrev_i32 v6, 31, v5
	s_add_nc_u64 s[14:15], s[6:7], s[4:5]
	v_mov_b32_e32 v15, v8
	s_xor_b64 s[4:5], s[14:15], s[4:5]
	s_delay_alu instid0(VALU_DEP_2)
	v_mov_b32_e32 v7, v6
	s_cvt_f32_u32 s2, s4
	s_cvt_f32_u32 s7, s5
	s_sub_nc_u64 s[16:17], 0, s[4:5]
	v_mov_b32_e32 v21, v8
	v_add_nc_u64_e32 v[10:11], v[4:5], v[6:7]
	s_fmamk_f32 s2, s7, 0x4f800000, s2
	v_mov_b32_e32 v9, v8
	s_delay_alu instid0(SALU_CYCLE_2) | instskip(NEXT) | instid1(VALU_DEP_2)
	v_s_rcp_f32 s2, s2
	v_xor_b32_e32 v12, v10, v6
	s_delay_alu instid0(VALU_DEP_3) | instskip(NEXT) | instid1(TRANS32_DEP_1)
	v_xor_b32_e32 v14, v11, v6
	s_mul_f32 s2, s2, 0x5f7ffffc
	s_delay_alu instid0(SALU_CYCLE_3) | instskip(NEXT) | instid1(SALU_CYCLE_3)
	s_mul_f32 s7, s2, 0x2f800000
	s_trunc_f32 s7, s7
	s_delay_alu instid0(SALU_CYCLE_3) | instskip(SKIP_1) | instid1(SALU_CYCLE_2)
	s_fmamk_f32 s2, s7, 0xcf800000, s2
	s_cvt_u32_f32 s15, s7
	s_cvt_u32_f32 s14, s2
	s_delay_alu instid0(SALU_CYCLE_3) | instskip(NEXT) | instid1(SALU_CYCLE_1)
	s_mul_u64 s[18:19], s[16:17], s[14:15]
	s_mul_hi_u32 s23, s14, s19
	s_mul_i32 s22, s14, s19
	s_mul_hi_u32 s20, s14, s18
	s_mul_i32 s7, s15, s18
	s_add_nc_u64 s[22:23], s[20:21], s[22:23]
	s_mul_hi_u32 s2, s15, s18
	s_mul_hi_u32 s13, s15, s19
	s_add_co_u32 s7, s22, s7
	s_add_co_ci_u32 s20, s23, s2
	s_mul_i32 s18, s15, s19
	s_add_co_ci_u32 s19, s13, 0
	s_delay_alu instid0(SALU_CYCLE_1) | instskip(NEXT) | instid1(SALU_CYCLE_1)
	s_add_nc_u64 s[18:19], s[20:21], s[18:19]
	s_add_co_u32 s14, s14, s18
	s_cselect_b32 s2, -1, 0
	s_delay_alu instid0(SALU_CYCLE_1) | instskip(SKIP_1) | instid1(SALU_CYCLE_1)
	s_cmp_lg_u32 s2, 0
	s_add_co_ci_u32 s15, s15, s19
	s_mul_u64 s[16:17], s[16:17], s[14:15]
	s_delay_alu instid0(SALU_CYCLE_1)
	s_mul_hi_u32 s19, s14, s17
	s_mul_i32 s18, s14, s17
	s_mul_hi_u32 s20, s14, s16
	s_mul_i32 s7, s15, s16
	s_add_nc_u64 s[18:19], s[20:21], s[18:19]
	s_mul_hi_u32 s2, s15, s16
	s_mul_hi_u32 s13, s15, s17
	s_add_co_u32 s7, s18, s7
	s_add_co_ci_u32 s20, s19, s2
	s_mul_i32 s16, s15, s17
	s_add_co_ci_u32 s17, s13, 0
	s_delay_alu instid0(SALU_CYCLE_1) | instskip(NEXT) | instid1(SALU_CYCLE_1)
	s_add_nc_u64 s[16:17], s[20:21], s[16:17]
	s_add_co_u32 s2, s14, s16
	s_cselect_b32 s7, -1, 0
	v_mul_hi_u32 v20, v12, s2
	s_cmp_lg_u32 s7, 0
	s_add_co_ci_u32 s20, s15, s17
	s_mov_b64 s[14:15], 0xffffffff
	v_mul_u64_e32 v[16:17], s[20:21], v[12:13]
	s_and_b64 s[14:15], s[2:3], s[14:15]
	v_mul_u64_e32 v[18:19], s[20:21], v[14:15]
	v_mul_u64_e32 v[10:11], s[14:15], v[14:15]
	s_delay_alu instid0(VALU_DEP_3) | instskip(NEXT) | instid1(VALU_DEP_1)
	v_add_nc_u64_e32 v[16:17], v[20:21], v[16:17]
	v_add_co_u32 v3, vcc_lo, v16, v10
	s_delay_alu instid0(VALU_DEP_2) | instskip(SKIP_1) | instid1(VALU_DEP_1)
	v_add_co_ci_u32_e32 v8, vcc_lo, v17, v11, vcc_lo
	v_add_co_ci_u32_e32 v19, vcc_lo, 0, v19, vcc_lo
	v_add_nc_u64_e32 v[8:9], v[8:9], v[18:19]
	s_delay_alu instid0(VALU_DEP_1) | instskip(NEXT) | instid1(VALU_DEP_1)
	v_mul_u64_e32 v[8:9], s[4:5], v[8:9]
	v_sub_co_u32 v8, vcc_lo, v12, v8
	s_delay_alu instid0(VALU_DEP_1) | instskip(NEXT) | instid1(VALU_DEP_1)
	v_cmp_le_u32_e64 s2, s4, v8
	v_cndmask_b32_e64 v12, 0, -1, s2
	s_delay_alu instid0(VALU_DEP_4) | instskip(SKIP_1) | instid1(VALU_DEP_2)
	v_sub_nc_u32_e32 v3, v14, v9
	v_sub_co_ci_u32_e64 v9, null, v14, v9, vcc_lo
	v_subrev_co_ci_u32_e64 v3, null, s5, v3, vcc_lo
	v_sub_co_u32 v10, vcc_lo, v8, s4
	s_delay_alu instid0(VALU_DEP_1) | instskip(NEXT) | instid1(VALU_DEP_2)
	v_subrev_co_ci_u32_e64 v11, null, 0, v3, vcc_lo
	v_cmp_le_u32_e64 s2, s4, v10
	v_subrev_co_ci_u32_e64 v3, null, s5, v3, vcc_lo
	v_cmp_le_u32_e32 vcc_lo, s5, v9
	s_delay_alu instid0(VALU_DEP_3) | instskip(SKIP_3) | instid1(VALU_DEP_3)
	v_cndmask_b32_e64 v13, 0, -1, s2
	v_cmp_le_u32_e64 s2, s5, v11
	v_cndmask_b32_e64 v15, 0, -1, vcc_lo
	v_cmp_eq_u32_e32 vcc_lo, s5, v11
	v_cndmask_b32_e64 v14, 0, -1, s2
	v_cmp_eq_u32_e64 s2, s5, v9
	s_delay_alu instid0(VALU_DEP_2) | instskip(SKIP_1) | instid1(VALU_DEP_1)
	v_cndmask_b32_e32 v13, v14, v13, vcc_lo
	v_sub_co_u32 v14, vcc_lo, v10, s4
	v_subrev_co_ci_u32_e64 v3, null, 0, v3, vcc_lo
	s_delay_alu instid0(VALU_DEP_3) | instskip(SKIP_1) | instid1(VALU_DEP_3)
	v_cmp_ne_u32_e32 vcc_lo, 0, v13
	v_cndmask_b32_e64 v12, v15, v12, s2
	v_dual_cndmask_b32 v3, v11, v3 :: v_dual_cndmask_b32 v10, v10, v14
	s_delay_alu instid0(VALU_DEP_2) | instskip(NEXT) | instid1(VALU_DEP_2)
	v_cmp_ne_u32_e32 vcc_lo, 0, v12
	v_dual_cndmask_b32 v3, v9, v3 :: v_dual_cndmask_b32 v8, v8, v10
	s_delay_alu instid0(VALU_DEP_1) | instskip(NEXT) | instid1(VALU_DEP_2)
	v_xor_b32_e32 v9, v3, v6
	v_xor_b32_e32 v8, v8, v6
	s_delay_alu instid0(VALU_DEP_1)
	v_sub_nc_u64_e32 v[6:7], v[8:9], v[6:7]
.LBB9_7:
	s_and_not1_saveexec_b32 s2, s12
	s_cbranch_execz .LBB9_9
; %bb.8:
	v_cvt_f32_u32_e32 v3, s6
	s_sub_co_i32 s4, 0, s6
	s_delay_alu instid0(VALU_DEP_1) | instskip(SKIP_1) | instid1(TRANS32_DEP_1)
	v_rcp_iflag_f32_e32 v3, v3
	v_nop
	v_mul_f32_e32 v3, 0x4f7ffffe, v3
	s_delay_alu instid0(VALU_DEP_1) | instskip(NEXT) | instid1(VALU_DEP_1)
	v_cvt_u32_f32_e32 v3, v3
	v_mul_lo_u32 v6, s4, v3
	s_delay_alu instid0(VALU_DEP_1) | instskip(NEXT) | instid1(VALU_DEP_1)
	v_mul_hi_u32 v6, v3, v6
	v_add_nc_u32_e32 v3, v3, v6
	s_delay_alu instid0(VALU_DEP_1) | instskip(NEXT) | instid1(VALU_DEP_1)
	v_mul_hi_u32 v3, v4, v3
	v_mul_lo_u32 v3, v3, s6
	s_delay_alu instid0(VALU_DEP_1) | instskip(NEXT) | instid1(VALU_DEP_1)
	v_sub_nc_u32_e32 v3, v4, v3
	v_subrev_nc_u32_e32 v6, s6, v3
	v_cmp_le_u32_e32 vcc_lo, s6, v3
	s_delay_alu instid0(VALU_DEP_2) | instskip(NEXT) | instid1(VALU_DEP_1)
	v_cndmask_b32_e32 v3, v3, v6, vcc_lo
	v_subrev_nc_u32_e32 v6, s6, v3
	v_cmp_le_u32_e32 vcc_lo, s6, v3
	s_delay_alu instid0(VALU_DEP_2)
	v_cndmask_b32_e32 v6, v3, v6, vcc_lo
.LBB9_9:
	s_or_b32 exec_lo, exec_lo, s2
	v_dual_mov_b32 v10, 0 :: v_dual_bitop2_b32 v11, s11, v1 bitop3:0x54
                                        ; implicit-def: $vgpr8_vgpr9
	s_mov_b32 s2, exec_lo
	s_delay_alu instid0(VALU_DEP_1)
	v_cmpx_ne_u64_e32 0, v[10:11]
	s_xor_b32 s12, exec_lo, s2
	s_cbranch_execz .LBB9_11
; %bb.10:
	s_ashr_i32 s4, s11, 31
	s_mov_b32 s21, 0
	s_mov_b32 s5, s4
	v_dual_mov_b32 v3, v2 :: v_dual_mov_b32 v13, v10
	s_add_nc_u64 s[6:7], s[10:11], s[4:5]
	v_mov_b32_e32 v11, v10
	s_xor_b64 s[6:7], s[6:7], s[4:5]
	s_delay_alu instid0(VALU_DEP_2) | instskip(SKIP_4) | instid1(SALU_CYCLE_1)
	v_add_nc_u64_e32 v[8:9], v[0:1], v[2:3]
	s_cvt_f32_u32 s2, s6
	s_cvt_f32_u32 s5, s7
	s_sub_nc_u64 s[16:17], 0, s[6:7]
	v_dual_mov_b32 v15, v10 :: v_dual_mov_b32 v21, v10
	s_fmamk_f32 s2, s5, 0x4f800000, s2
	s_delay_alu instid0(VALU_DEP_2) | instskip(SKIP_3) | instid1(TRANS32_DEP_1)
	v_xor_b32_e32 v12, v8, v2
	v_xor_b32_e32 v14, v9, v2
	;; [unrolled: 1-line block ×3, first 2 shown]
	v_s_rcp_f32 s2, s2
	s_mul_f32 s2, s2, 0x5f7ffffc
	s_delay_alu instid0(SALU_CYCLE_3) | instskip(NEXT) | instid1(SALU_CYCLE_3)
	s_mul_f32 s5, s2, 0x2f800000
	s_trunc_f32 s5, s5
	s_delay_alu instid0(SALU_CYCLE_3) | instskip(SKIP_1) | instid1(SALU_CYCLE_2)
	s_fmamk_f32 s2, s5, 0xcf800000, s2
	s_cvt_u32_f32 s15, s5
	s_cvt_u32_f32 s14, s2
	s_delay_alu instid0(SALU_CYCLE_3) | instskip(NEXT) | instid1(SALU_CYCLE_1)
	s_mul_u64 s[18:19], s[16:17], s[14:15]
	s_mul_hi_u32 s23, s14, s19
	s_mul_i32 s22, s14, s19
	s_mul_hi_u32 s20, s14, s18
	s_mul_i32 s5, s15, s18
	s_add_nc_u64 s[22:23], s[20:21], s[22:23]
	s_mul_hi_u32 s2, s15, s18
	s_mul_hi_u32 s11, s15, s19
	s_add_co_u32 s5, s22, s5
	s_add_co_ci_u32 s20, s23, s2
	s_mul_i32 s18, s15, s19
	s_add_co_ci_u32 s19, s11, 0
	s_delay_alu instid0(SALU_CYCLE_1) | instskip(NEXT) | instid1(SALU_CYCLE_1)
	s_add_nc_u64 s[18:19], s[20:21], s[18:19]
	s_add_co_u32 s14, s14, s18
	s_cselect_b32 s2, -1, 0
	s_delay_alu instid0(SALU_CYCLE_1) | instskip(SKIP_1) | instid1(SALU_CYCLE_1)
	s_cmp_lg_u32 s2, 0
	s_add_co_ci_u32 s15, s15, s19
	s_mul_u64 s[16:17], s[16:17], s[14:15]
	s_delay_alu instid0(SALU_CYCLE_1)
	s_mul_hi_u32 s19, s14, s17
	s_mul_i32 s18, s14, s17
	s_mul_hi_u32 s20, s14, s16
	s_mul_i32 s5, s15, s16
	s_add_nc_u64 s[18:19], s[20:21], s[18:19]
	s_mul_hi_u32 s2, s15, s16
	s_mul_hi_u32 s11, s15, s17
	s_add_co_u32 s5, s18, s5
	s_add_co_ci_u32 s20, s19, s2
	s_mul_i32 s16, s15, s17
	s_add_co_ci_u32 s17, s11, 0
	s_delay_alu instid0(SALU_CYCLE_1) | instskip(NEXT) | instid1(SALU_CYCLE_1)
	s_add_nc_u64 s[16:17], s[20:21], s[16:17]
	s_add_co_u32 s2, s14, s16
	s_cselect_b32 s5, -1, 0
	v_nop
	v_mul_hi_u32 v20, v12, s2
	s_cmp_lg_u32 s5, 0
	s_add_co_ci_u32 s20, s15, s17
	s_mov_b64 s[14:15], 0xffffffff
	v_mul_u64_e32 v[16:17], s[20:21], v[12:13]
	s_and_b64 s[14:15], s[2:3], s[14:15]
	v_mul_u64_e32 v[18:19], s[20:21], v[14:15]
	v_mul_u64_e32 v[8:9], s[14:15], v[14:15]
	s_delay_alu instid0(VALU_DEP_3) | instskip(NEXT) | instid1(VALU_DEP_1)
	v_add_nc_u64_e32 v[16:17], v[20:21], v[16:17]
	v_add_co_u32 v3, vcc_lo, v16, v8
	s_delay_alu instid0(VALU_DEP_2) | instskip(SKIP_1) | instid1(VALU_DEP_1)
	v_add_co_ci_u32_e32 v10, vcc_lo, v17, v9, vcc_lo
	v_add_co_ci_u32_e32 v19, vcc_lo, 0, v19, vcc_lo
	v_add_nc_u64_e32 v[8:9], v[10:11], v[18:19]
	s_delay_alu instid0(VALU_DEP_1) | instskip(NEXT) | instid1(VALU_DEP_1)
	v_mul_u64_e32 v[10:11], s[6:7], v[8:9]
	v_sub_co_u32 v7, vcc_lo, v12, v10
	v_add_nc_u64_e32 v[12:13], 1, v[8:9]
	s_delay_alu instid0(VALU_DEP_3) | instskip(SKIP_1) | instid1(VALU_DEP_4)
	v_sub_nc_u32_e32 v3, v14, v11
	v_sub_co_ci_u32_e64 v14, null, v14, v11, vcc_lo
	v_sub_co_u32 v10, s2, v7, s6
	s_delay_alu instid0(VALU_DEP_3) | instskip(NEXT) | instid1(VALU_DEP_2)
	v_subrev_co_ci_u32_e64 v3, null, s7, v3, vcc_lo
	v_cmp_le_u32_e32 vcc_lo, s6, v10
	s_delay_alu instid0(VALU_DEP_2) | instskip(SKIP_1) | instid1(VALU_DEP_2)
	v_subrev_co_ci_u32_e64 v3, null, 0, v3, s2
	v_cndmask_b32_e64 v10, 0, -1, vcc_lo
	v_cmp_le_u32_e32 vcc_lo, s7, v3
	v_cndmask_b32_e64 v11, 0, -1, vcc_lo
	v_cmp_le_u32_e32 vcc_lo, s6, v7
	;; [unrolled: 2-line block ×3, first 2 shown]
	v_cndmask_b32_e64 v15, 0, -1, vcc_lo
	v_cmp_eq_u32_e32 vcc_lo, s7, v3
	v_cndmask_b32_e32 v3, v11, v10, vcc_lo
	v_cmp_eq_u32_e32 vcc_lo, s7, v14
	v_add_nc_u64_e32 v[10:11], 2, v[8:9]
	v_cndmask_b32_e32 v7, v15, v7, vcc_lo
	s_delay_alu instid0(VALU_DEP_4) | instskip(NEXT) | instid1(VALU_DEP_2)
	v_cmp_ne_u32_e32 vcc_lo, 0, v3
	v_cmp_ne_u32_e64 s2, 0, v7
	s_delay_alu instid0(VALU_DEP_4) | instskip(NEXT) | instid1(VALU_DEP_1)
	v_dual_cndmask_b32 v3, v13, v11, vcc_lo :: v_dual_cndmask_b32 v7, v12, v10, vcc_lo
	v_dual_cndmask_b32 v9, v9, v3, s2 :: v_dual_mov_b32 v3, v2
	s_delay_alu instid0(VALU_DEP_1) | instskip(NEXT) | instid1(VALU_DEP_1)
	v_dual_cndmask_b32 v7, v8, v7, s2 :: v_dual_bitop2_b32 v9, v9, v2 bitop3:0x14
	v_xor_b32_e32 v8, v7, v2
	s_delay_alu instid0(VALU_DEP_1)
	v_sub_nc_u64_e32 v[8:9], v[8:9], v[2:3]
.LBB9_11:
	s_and_not1_saveexec_b32 s2, s12
	s_cbranch_execz .LBB9_13
; %bb.12:
	v_cvt_f32_u32_e32 v2, s10
	s_sub_co_i32 s4, 0, s10
	s_delay_alu instid0(VALU_DEP_1) | instskip(SKIP_1) | instid1(TRANS32_DEP_1)
	v_rcp_iflag_f32_e32 v2, v2
	v_nop
	v_mul_f32_e32 v2, 0x4f7ffffe, v2
	s_delay_alu instid0(VALU_DEP_1) | instskip(NEXT) | instid1(VALU_DEP_1)
	v_cvt_u32_f32_e32 v2, v2
	v_mul_lo_u32 v3, s4, v2
	s_delay_alu instid0(VALU_DEP_1) | instskip(NEXT) | instid1(VALU_DEP_1)
	v_mul_hi_u32 v3, v2, v3
	v_add_nc_u32_e32 v2, v2, v3
	s_delay_alu instid0(VALU_DEP_1) | instskip(NEXT) | instid1(VALU_DEP_1)
	v_mul_hi_u32 v2, v0, v2
	v_mul_lo_u32 v3, v2, s10
	s_delay_alu instid0(VALU_DEP_1) | instskip(NEXT) | instid1(VALU_DEP_1)
	v_dual_add_nc_u32 v7, 1, v2 :: v_dual_sub_nc_u32 v3, v0, v3
	v_subrev_nc_u32_e32 v8, s10, v3
	v_cmp_le_u32_e32 vcc_lo, s10, v3
	s_delay_alu instid0(VALU_DEP_2) | instskip(NEXT) | instid1(VALU_DEP_1)
	v_dual_cndmask_b32 v3, v3, v8 :: v_dual_cndmask_b32 v2, v2, v7
	v_cmp_le_u32_e32 vcc_lo, s10, v3
	s_delay_alu instid0(VALU_DEP_2) | instskip(NEXT) | instid1(VALU_DEP_1)
	v_add_nc_u32_e32 v7, 1, v2
	v_cndmask_b32_e32 v8, v2, v7, vcc_lo
.LBB9_13:
	s_or_b32 exec_lo, exec_lo, s2
	v_mul_u64_e32 v[2:3], s[8:9], v[4:5]
	s_clause 0x2
	s_load_b256 s[4:11], s[0:1], 0x88
	s_load_b64 s[12:13], s[0:1], 0xa8
	s_load_b128 s[20:23], s[0:1], 0xb0
	v_dual_ashrrev_i32 v9, 31, v8 :: v_dual_ashrrev_i32 v7, 31, v6
	s_load_b32 s2, s[0:1], 0xc0
	s_bfe_u32 s15, ttmp6, 0x40014
	s_lshr_b32 s14, ttmp7, 16
	s_add_co_i32 s15, s15, 1
	s_bfe_u32 s16, ttmp6, 0x40008
	s_mul_i32 s15, s14, s15
	s_delay_alu instid0(SALU_CYCLE_1) | instskip(SKIP_3) | instid1(VALU_DEP_3)
	s_add_co_i32 s16, s16, s15
	s_wait_kmcnt 0x0
	v_mul_u64_e32 v[4:5], s[8:9], v[8:9]
	s_load_b64 s[8:9], s[0:1], 0x58
	v_sub_nc_u64_e32 v[0:1], v[0:1], v[2:3]
	v_mul_u64_e32 v[2:3], s[10:11], v[6:7]
	s_bfe_u32 s10, ttmp6, 0x40010
	s_and_b32 s11, ttmp7, 0xffff
	s_add_co_i32 s10, s10, 1
	s_delay_alu instid0(SALU_CYCLE_1) | instskip(NEXT) | instid1(VALU_DEP_2)
	s_mul_i32 s10, s11, s10
	v_mul_u64_e32 v[10:11], s[12:13], v[0:1]
	s_bfe_u32 s12, ttmp6, 0x40004
	s_delay_alu instid0(SALU_CYCLE_1)
	s_add_co_i32 s12, s12, s10
	s_cmp_eq_u32 s3, 0
	s_cselect_b32 s3, s14, s16
	s_cselect_b32 s10, s11, s12
	s_add_co_i32 s2, s2, s3
	s_add_co_i32 s24, s23, s10
	s_ashr_i32 s3, s2, 31
	s_ashr_i32 s25, s24, 31
	s_mul_u64 s[4:5], s[4:5], s[2:3]
	s_mul_u64 s[6:7], s[6:7], s[24:25]
	s_lshl_b64 s[4:5], s[4:5], 3
	s_lshl_b64 s[6:7], s[6:7], 3
	s_wait_kmcnt 0x0
	s_add_nc_u64 s[4:5], s[8:9], s[4:5]
	s_max_i32 s27, s20, 0
	s_add_nc_u64 s[4:5], s[4:5], s[6:7]
	s_max_i32 s23, s22, 0
	s_delay_alu instid0(VALU_DEP_4)
	v_lshl_add_u64 v[4:5], v[4:5], 3, s[4:5]
	s_load_b512 s[4:19], s[0:1], 0x18
	s_wait_kmcnt 0x0
	s_sub_co_i32 s9, 0, s20
	s_sub_co_i32 s5, 0, s22
	s_max_i32 s9, s9, 0
	s_sub_co_i32 s7, 0, s21
	s_delay_alu instid0(VALU_DEP_3) | instskip(SKIP_4) | instid1(VALU_DEP_3)
	v_lshl_add_u64 v[2:3], v[2:3], 3, v[4:5]
	s_max_i32 s5, s5, 0
	s_max_i32 s7, s7, 0
	;; [unrolled: 1-line block ×3, first 2 shown]
	s_load_b64 s[0:1], s[0:1], 0x0
	v_lshl_add_u64 v[2:3], v[10:11], 3, v[2:3]
	global_load_b64 v[2:3], v[2:3], off
	s_add_co_i32 s4, s20, s4
	s_add_co_i32 s6, s21, s6
	s_add_co_i32 s4, s4, -1
	s_add_co_i32 s6, s6, -1
	v_maxmin_i32 v1, s20, v8, s4
	s_add_co_i32 s4, s22, s8
	s_sub_co_i32 s8, s9, s27
	s_add_co_i32 s4, s4, -1
	v_maxmin_i32 v5, s21, v6, s6
	v_add_nc_u32_e32 v4, s8, v1
	v_maxmin_i32 v1, s22, v0, s4
	s_sub_co_i32 s6, s7, s26
	s_sub_co_i32 s4, s5, s23
	s_mul_u64 s[2:3], s[10:11], s[2:3]
	s_delay_alu instid0(VALU_DEP_1) | instskip(SKIP_3) | instid1(VALU_DEP_1)
	v_add_nc_u32_e32 v6, s4, v1
	v_dual_add_nc_u32 v0, s6, v5 :: v_dual_ashrrev_i32 v5, 31, v4
	s_lshl_b64 s[2:3], s[2:3], 3
	s_mul_u64 s[4:5], s[12:13], s[24:25]
	v_dual_ashrrev_i32 v7, 31, v6 :: v_dual_ashrrev_i32 v1, 31, v0
	s_delay_alu instid0(VALU_DEP_2)
	v_mul_u64_e32 v[4:5], s[14:15], v[4:5]
	s_wait_kmcnt 0x0
	s_add_nc_u64 s[0:1], s[0:1], s[2:3]
	s_lshl_b64 s[2:3], s[4:5], 3
	v_mul_u64_e32 v[6:7], s[18:19], v[6:7]
	v_mul_u64_e32 v[0:1], s[16:17], v[0:1]
	s_add_nc_u64 s[0:1], s[0:1], s[2:3]
	s_delay_alu instid0(VALU_DEP_3) | instid1(SALU_CYCLE_1)
	v_lshl_add_u64 v[4:5], v[4:5], 3, s[0:1]
	s_delay_alu instid0(VALU_DEP_1) | instskip(NEXT) | instid1(VALU_DEP_1)
	v_lshl_add_u64 v[0:1], v[0:1], 3, v[4:5]
	v_lshl_add_u64 v[0:1], v[6:7], 3, v[0:1]
	s_wait_xcnt 0x0
	s_wait_loadcnt 0x0
	global_atomic_add_f32 v[0:1], v2, off scope:SCOPE_DEV
	s_wait_xcnt 0x0
	global_atomic_add_f32 v[0:1], v3, off offset:4 scope:SCOPE_DEV
.LBB9_14:
	s_endpgm
	.section	.rodata,"a",@progbits
	.p2align	6, 0x0
	.amdhsa_kernel _ZN2at6native12_GLOBAL__N_131replication_pad_backward_kernelIN3c107complexIfEEEEvN5torch10headeronly6detail27GenericPackedTensorAccessorINS8_14TensorAccessorINS3_8ArrayRefIlEET_Lm4ENS7_16DefaultPtrTraitsElEENS_6detail16IndexBoundsCheckILm5ElEESD_Lm5ESE_lEENS9_INSA_ISC_KSD_Lm4ESE_lEESI_SK_Lm5ESE_lEEiiiii
		.amdhsa_group_segment_fixed_size 0
		.amdhsa_private_segment_fixed_size 0
		.amdhsa_kernarg_size 456
		.amdhsa_user_sgpr_count 2
		.amdhsa_user_sgpr_dispatch_ptr 0
		.amdhsa_user_sgpr_queue_ptr 0
		.amdhsa_user_sgpr_kernarg_segment_ptr 1
		.amdhsa_user_sgpr_dispatch_id 0
		.amdhsa_user_sgpr_kernarg_preload_length 0
		.amdhsa_user_sgpr_kernarg_preload_offset 0
		.amdhsa_user_sgpr_private_segment_size 0
		.amdhsa_wavefront_size32 1
		.amdhsa_uses_dynamic_stack 0
		.amdhsa_enable_private_segment 0
		.amdhsa_system_sgpr_workgroup_id_x 1
		.amdhsa_system_sgpr_workgroup_id_y 1
		.amdhsa_system_sgpr_workgroup_id_z 1
		.amdhsa_system_sgpr_workgroup_info 0
		.amdhsa_system_vgpr_workitem_id 0
		.amdhsa_next_free_vgpr 22
		.amdhsa_next_free_sgpr 28
		.amdhsa_named_barrier_count 0
		.amdhsa_reserve_vcc 1
		.amdhsa_float_round_mode_32 0
		.amdhsa_float_round_mode_16_64 0
		.amdhsa_float_denorm_mode_32 3
		.amdhsa_float_denorm_mode_16_64 3
		.amdhsa_fp16_overflow 0
		.amdhsa_memory_ordered 1
		.amdhsa_forward_progress 1
		.amdhsa_inst_pref_size 23
		.amdhsa_round_robin_scheduling 0
		.amdhsa_exception_fp_ieee_invalid_op 0
		.amdhsa_exception_fp_denorm_src 0
		.amdhsa_exception_fp_ieee_div_zero 0
		.amdhsa_exception_fp_ieee_overflow 0
		.amdhsa_exception_fp_ieee_underflow 0
		.amdhsa_exception_fp_ieee_inexact 0
		.amdhsa_exception_int_div_zero 0
	.end_amdhsa_kernel
	.section	.text._ZN2at6native12_GLOBAL__N_131replication_pad_backward_kernelIN3c107complexIfEEEEvN5torch10headeronly6detail27GenericPackedTensorAccessorINS8_14TensorAccessorINS3_8ArrayRefIlEET_Lm4ENS7_16DefaultPtrTraitsElEENS_6detail16IndexBoundsCheckILm5ElEESD_Lm5ESE_lEENS9_INSA_ISC_KSD_Lm4ESE_lEESI_SK_Lm5ESE_lEEiiiii,"axG",@progbits,_ZN2at6native12_GLOBAL__N_131replication_pad_backward_kernelIN3c107complexIfEEEEvN5torch10headeronly6detail27GenericPackedTensorAccessorINS8_14TensorAccessorINS3_8ArrayRefIlEET_Lm4ENS7_16DefaultPtrTraitsElEENS_6detail16IndexBoundsCheckILm5ElEESD_Lm5ESE_lEENS9_INSA_ISC_KSD_Lm4ESE_lEESI_SK_Lm5ESE_lEEiiiii,comdat
.Lfunc_end9:
	.size	_ZN2at6native12_GLOBAL__N_131replication_pad_backward_kernelIN3c107complexIfEEEEvN5torch10headeronly6detail27GenericPackedTensorAccessorINS8_14TensorAccessorINS3_8ArrayRefIlEET_Lm4ENS7_16DefaultPtrTraitsElEENS_6detail16IndexBoundsCheckILm5ElEESD_Lm5ESE_lEENS9_INSA_ISC_KSD_Lm4ESE_lEESI_SK_Lm5ESE_lEEiiiii, .Lfunc_end9-_ZN2at6native12_GLOBAL__N_131replication_pad_backward_kernelIN3c107complexIfEEEEvN5torch10headeronly6detail27GenericPackedTensorAccessorINS8_14TensorAccessorINS3_8ArrayRefIlEET_Lm4ENS7_16DefaultPtrTraitsElEENS_6detail16IndexBoundsCheckILm5ElEESD_Lm5ESE_lEENS9_INSA_ISC_KSD_Lm4ESE_lEESI_SK_Lm5ESE_lEEiiiii
                                        ; -- End function
	.set _ZN2at6native12_GLOBAL__N_131replication_pad_backward_kernelIN3c107complexIfEEEEvN5torch10headeronly6detail27GenericPackedTensorAccessorINS8_14TensorAccessorINS3_8ArrayRefIlEET_Lm4ENS7_16DefaultPtrTraitsElEENS_6detail16IndexBoundsCheckILm5ElEESD_Lm5ESE_lEENS9_INSA_ISC_KSD_Lm4ESE_lEESI_SK_Lm5ESE_lEEiiiii.num_vgpr, 22
	.set _ZN2at6native12_GLOBAL__N_131replication_pad_backward_kernelIN3c107complexIfEEEEvN5torch10headeronly6detail27GenericPackedTensorAccessorINS8_14TensorAccessorINS3_8ArrayRefIlEET_Lm4ENS7_16DefaultPtrTraitsElEENS_6detail16IndexBoundsCheckILm5ElEESD_Lm5ESE_lEENS9_INSA_ISC_KSD_Lm4ESE_lEESI_SK_Lm5ESE_lEEiiiii.num_agpr, 0
	.set _ZN2at6native12_GLOBAL__N_131replication_pad_backward_kernelIN3c107complexIfEEEEvN5torch10headeronly6detail27GenericPackedTensorAccessorINS8_14TensorAccessorINS3_8ArrayRefIlEET_Lm4ENS7_16DefaultPtrTraitsElEENS_6detail16IndexBoundsCheckILm5ElEESD_Lm5ESE_lEENS9_INSA_ISC_KSD_Lm4ESE_lEESI_SK_Lm5ESE_lEEiiiii.numbered_sgpr, 28
	.set _ZN2at6native12_GLOBAL__N_131replication_pad_backward_kernelIN3c107complexIfEEEEvN5torch10headeronly6detail27GenericPackedTensorAccessorINS8_14TensorAccessorINS3_8ArrayRefIlEET_Lm4ENS7_16DefaultPtrTraitsElEENS_6detail16IndexBoundsCheckILm5ElEESD_Lm5ESE_lEENS9_INSA_ISC_KSD_Lm4ESE_lEESI_SK_Lm5ESE_lEEiiiii.num_named_barrier, 0
	.set _ZN2at6native12_GLOBAL__N_131replication_pad_backward_kernelIN3c107complexIfEEEEvN5torch10headeronly6detail27GenericPackedTensorAccessorINS8_14TensorAccessorINS3_8ArrayRefIlEET_Lm4ENS7_16DefaultPtrTraitsElEENS_6detail16IndexBoundsCheckILm5ElEESD_Lm5ESE_lEENS9_INSA_ISC_KSD_Lm4ESE_lEESI_SK_Lm5ESE_lEEiiiii.private_seg_size, 0
	.set _ZN2at6native12_GLOBAL__N_131replication_pad_backward_kernelIN3c107complexIfEEEEvN5torch10headeronly6detail27GenericPackedTensorAccessorINS8_14TensorAccessorINS3_8ArrayRefIlEET_Lm4ENS7_16DefaultPtrTraitsElEENS_6detail16IndexBoundsCheckILm5ElEESD_Lm5ESE_lEENS9_INSA_ISC_KSD_Lm4ESE_lEESI_SK_Lm5ESE_lEEiiiii.uses_vcc, 1
	.set _ZN2at6native12_GLOBAL__N_131replication_pad_backward_kernelIN3c107complexIfEEEEvN5torch10headeronly6detail27GenericPackedTensorAccessorINS8_14TensorAccessorINS3_8ArrayRefIlEET_Lm4ENS7_16DefaultPtrTraitsElEENS_6detail16IndexBoundsCheckILm5ElEESD_Lm5ESE_lEENS9_INSA_ISC_KSD_Lm4ESE_lEESI_SK_Lm5ESE_lEEiiiii.uses_flat_scratch, 0
	.set _ZN2at6native12_GLOBAL__N_131replication_pad_backward_kernelIN3c107complexIfEEEEvN5torch10headeronly6detail27GenericPackedTensorAccessorINS8_14TensorAccessorINS3_8ArrayRefIlEET_Lm4ENS7_16DefaultPtrTraitsElEENS_6detail16IndexBoundsCheckILm5ElEESD_Lm5ESE_lEENS9_INSA_ISC_KSD_Lm4ESE_lEESI_SK_Lm5ESE_lEEiiiii.has_dyn_sized_stack, 0
	.set _ZN2at6native12_GLOBAL__N_131replication_pad_backward_kernelIN3c107complexIfEEEEvN5torch10headeronly6detail27GenericPackedTensorAccessorINS8_14TensorAccessorINS3_8ArrayRefIlEET_Lm4ENS7_16DefaultPtrTraitsElEENS_6detail16IndexBoundsCheckILm5ElEESD_Lm5ESE_lEENS9_INSA_ISC_KSD_Lm4ESE_lEESI_SK_Lm5ESE_lEEiiiii.has_recursion, 0
	.set _ZN2at6native12_GLOBAL__N_131replication_pad_backward_kernelIN3c107complexIfEEEEvN5torch10headeronly6detail27GenericPackedTensorAccessorINS8_14TensorAccessorINS3_8ArrayRefIlEET_Lm4ENS7_16DefaultPtrTraitsElEENS_6detail16IndexBoundsCheckILm5ElEESD_Lm5ESE_lEENS9_INSA_ISC_KSD_Lm4ESE_lEESI_SK_Lm5ESE_lEEiiiii.has_indirect_call, 0
	.section	.AMDGPU.csdata,"",@progbits
; Kernel info:
; codeLenInByte = 2924
; TotalNumSgprs: 30
; NumVgprs: 22
; ScratchSize: 0
; MemoryBound: 0
; FloatMode: 240
; IeeeMode: 1
; LDSByteSize: 0 bytes/workgroup (compile time only)
; SGPRBlocks: 0
; VGPRBlocks: 1
; NumSGPRsForWavesPerEU: 30
; NumVGPRsForWavesPerEU: 22
; NamedBarCnt: 0
; Occupancy: 16
; WaveLimiterHint : 1
; COMPUTE_PGM_RSRC2:SCRATCH_EN: 0
; COMPUTE_PGM_RSRC2:USER_SGPR: 2
; COMPUTE_PGM_RSRC2:TRAP_HANDLER: 0
; COMPUTE_PGM_RSRC2:TGID_X_EN: 1
; COMPUTE_PGM_RSRC2:TGID_Y_EN: 1
; COMPUTE_PGM_RSRC2:TGID_Z_EN: 1
; COMPUTE_PGM_RSRC2:TIDIG_COMP_CNT: 0
	.section	.text._ZN2at6native12_GLOBAL__N_131replication_pad_backward_kernelIN3c104HalfEEEvN5torch10headeronly6detail27GenericPackedTensorAccessorINS7_14TensorAccessorINS3_8ArrayRefIlEET_Lm4ENS6_16DefaultPtrTraitsElEENS_6detail16IndexBoundsCheckILm5ElEESC_Lm5ESD_lEENS8_INS9_ISB_KSC_Lm4ESD_lEESH_SJ_Lm5ESD_lEEiiiii,"axG",@progbits,_ZN2at6native12_GLOBAL__N_131replication_pad_backward_kernelIN3c104HalfEEEvN5torch10headeronly6detail27GenericPackedTensorAccessorINS7_14TensorAccessorINS3_8ArrayRefIlEET_Lm4ENS6_16DefaultPtrTraitsElEENS_6detail16IndexBoundsCheckILm5ElEESC_Lm5ESD_lEENS8_INS9_ISB_KSC_Lm4ESD_lEESH_SJ_Lm5ESD_lEEiiiii,comdat
	.globl	_ZN2at6native12_GLOBAL__N_131replication_pad_backward_kernelIN3c104HalfEEEvN5torch10headeronly6detail27GenericPackedTensorAccessorINS7_14TensorAccessorINS3_8ArrayRefIlEET_Lm4ENS6_16DefaultPtrTraitsElEENS_6detail16IndexBoundsCheckILm5ElEESC_Lm5ESD_lEENS8_INS9_ISB_KSC_Lm4ESD_lEESH_SJ_Lm5ESD_lEEiiiii ; -- Begin function _ZN2at6native12_GLOBAL__N_131replication_pad_backward_kernelIN3c104HalfEEEvN5torch10headeronly6detail27GenericPackedTensorAccessorINS7_14TensorAccessorINS3_8ArrayRefIlEET_Lm4ENS6_16DefaultPtrTraitsElEENS_6detail16IndexBoundsCheckILm5ElEESC_Lm5ESD_lEENS8_INS9_ISB_KSC_Lm4ESD_lEESH_SJ_Lm5ESD_lEEiiiii
	.p2align	8
	.type	_ZN2at6native12_GLOBAL__N_131replication_pad_backward_kernelIN3c104HalfEEEvN5torch10headeronly6detail27GenericPackedTensorAccessorINS7_14TensorAccessorINS3_8ArrayRefIlEET_Lm4ENS6_16DefaultPtrTraitsElEENS_6detail16IndexBoundsCheckILm5ElEESC_Lm5ESD_lEENS8_INS9_ISB_KSC_Lm4ESD_lEESH_SJ_Lm5ESD_lEEiiiii,@function
_ZN2at6native12_GLOBAL__N_131replication_pad_backward_kernelIN3c104HalfEEEvN5torch10headeronly6detail27GenericPackedTensorAccessorINS7_14TensorAccessorINS3_8ArrayRefIlEET_Lm4ENS6_16DefaultPtrTraitsElEENS_6detail16IndexBoundsCheckILm5ElEESC_Lm5ESD_lEENS8_INS9_ISB_KSC_Lm4ESD_lEESH_SJ_Lm5ESD_lEEiiiii: ; @_ZN2at6native12_GLOBAL__N_131replication_pad_backward_kernelIN3c104HalfEEEvN5torch10headeronly6detail27GenericPackedTensorAccessorINS7_14TensorAccessorINS3_8ArrayRefIlEET_Lm4ENS6_16DefaultPtrTraitsElEENS_6detail16IndexBoundsCheckILm5ElEESC_Lm5ESD_lEENS8_INS9_ISB_KSC_Lm4ESD_lEESH_SJ_Lm5ESD_lEEiiiii
; %bb.0:
	s_load_b32 s2, s[0:1], 0xd4
	s_bfe_u32 s4, ttmp6, 0x4000c
	s_and_b32 s10, ttmp6, 15
	s_add_co_i32 s11, s4, 1
	s_clause 0x1
	s_load_b128 s[4:7], s[0:1], 0x70
	s_load_b64 s[8:9], s[0:1], 0x80
	s_mul_i32 s11, ttmp9, s11
	s_getreg_b32 s3, hwreg(HW_REG_IB_STS2, 6, 4)
	s_add_co_i32 s10, s10, s11
	s_wait_kmcnt 0x0
	s_and_b32 s2, s2, 0xffff
	s_cmp_eq_u32 s3, 0
	s_cselect_b32 s10, ttmp9, s10
	s_delay_alu instid0(SALU_CYCLE_1) | instskip(SKIP_3) | instid1(VALU_DEP_1)
	v_mad_u32 v0, s10, s2, v0
	s_mul_u64 s[10:11], s[8:9], s[6:7]
	s_mov_b32 s2, exec_lo
	s_mul_u64 s[4:5], s[10:11], s[4:5]
	v_ashrrev_i32_e32 v1, 31, v0
	s_delay_alu instid0(VALU_DEP_1)
	v_cmpx_gt_i64_e64 s[4:5], v[0:1]
	s_cbranch_execz .LBB10_19
; %bb.1:
	v_dual_mov_b32 v6, 0 :: v_dual_bitop2_b32 v7, s9, v1 bitop3:0x54
	v_ashrrev_i32_e32 v2, 31, v1
                                        ; implicit-def: $vgpr4_vgpr5
	s_mov_b32 s2, exec_lo
	s_delay_alu instid0(VALU_DEP_2)
	v_cmpx_ne_u64_e32 0, v[6:7]
	s_xor_b32 s14, exec_lo, s2
	s_cbranch_execz .LBB10_3
; %bb.2:
	s_ashr_i32 s4, s9, 31
	s_mov_b32 s23, 0
	s_mov_b32 s5, s4
	v_dual_mov_b32 v3, v2 :: v_dual_mov_b32 v9, v6
	s_add_nc_u64 s[12:13], s[8:9], s[4:5]
	v_mov_b32_e32 v7, v6
	s_xor_b64 s[12:13], s[12:13], s[4:5]
	s_delay_alu instid0(VALU_DEP_2) | instskip(SKIP_4) | instid1(SALU_CYCLE_1)
	v_add_nc_u64_e32 v[4:5], v[0:1], v[2:3]
	s_cvt_f32_u32 s2, s12
	s_cvt_f32_u32 s5, s13
	s_sub_nc_u64 s[18:19], 0, s[12:13]
	v_dual_mov_b32 v11, v6 :: v_dual_mov_b32 v17, v6
	s_fmamk_f32 s2, s5, 0x4f800000, s2
	s_delay_alu instid0(VALU_DEP_2) | instskip(SKIP_1) | instid1(SALU_CYCLE_1)
	v_xor_b32_e32 v8, v4, v2
	v_xor_b32_e32 v10, v5, v2
	v_s_rcp_f32 s2, s2
	s_delay_alu instid0(TRANS32_DEP_1) | instskip(NEXT) | instid1(SALU_CYCLE_3)
	s_mul_f32 s2, s2, 0x5f7ffffc
	s_mul_f32 s5, s2, 0x2f800000
	s_delay_alu instid0(SALU_CYCLE_3) | instskip(NEXT) | instid1(SALU_CYCLE_3)
	s_trunc_f32 s5, s5
	s_fmamk_f32 s2, s5, 0xcf800000, s2
	s_cvt_u32_f32 s17, s5
	s_delay_alu instid0(SALU_CYCLE_2) | instskip(NEXT) | instid1(SALU_CYCLE_3)
	s_cvt_u32_f32 s16, s2
	s_mul_u64 s[20:21], s[18:19], s[16:17]
	s_delay_alu instid0(SALU_CYCLE_1)
	s_mul_hi_u32 s25, s16, s21
	s_mul_i32 s24, s16, s21
	s_mul_hi_u32 s22, s16, s20
	s_mul_i32 s5, s17, s20
	s_add_nc_u64 s[24:25], s[22:23], s[24:25]
	s_mul_hi_u32 s2, s17, s20
	s_mul_hi_u32 s15, s17, s21
	s_add_co_u32 s5, s24, s5
	s_add_co_ci_u32 s22, s25, s2
	s_mul_i32 s20, s17, s21
	s_add_co_ci_u32 s21, s15, 0
	s_delay_alu instid0(SALU_CYCLE_1) | instskip(NEXT) | instid1(SALU_CYCLE_1)
	s_add_nc_u64 s[20:21], s[22:23], s[20:21]
	s_add_co_u32 s16, s16, s20
	s_cselect_b32 s2, -1, 0
	s_delay_alu instid0(SALU_CYCLE_1) | instskip(SKIP_1) | instid1(SALU_CYCLE_1)
	s_cmp_lg_u32 s2, 0
	s_add_co_ci_u32 s17, s17, s21
	s_mul_u64 s[18:19], s[18:19], s[16:17]
	s_delay_alu instid0(SALU_CYCLE_1)
	s_mul_hi_u32 s21, s16, s19
	s_mul_i32 s20, s16, s19
	s_mul_hi_u32 s22, s16, s18
	s_mul_i32 s5, s17, s18
	s_add_nc_u64 s[20:21], s[22:23], s[20:21]
	s_mul_hi_u32 s2, s17, s18
	s_mul_hi_u32 s15, s17, s19
	s_add_co_u32 s5, s20, s5
	s_add_co_ci_u32 s22, s21, s2
	s_mul_i32 s18, s17, s19
	s_add_co_ci_u32 s19, s15, 0
	s_delay_alu instid0(SALU_CYCLE_1) | instskip(NEXT) | instid1(SALU_CYCLE_1)
	s_add_nc_u64 s[18:19], s[22:23], s[18:19]
	s_add_co_u32 s2, s16, s18
	s_cselect_b32 s5, -1, 0
	v_nop
	v_mul_hi_u32 v16, v8, s2
	s_cmp_lg_u32 s5, 0
	s_add_co_ci_u32 s22, s17, s19
	s_mov_b64 s[16:17], 0xffffffff
	v_mul_u64_e32 v[12:13], s[22:23], v[8:9]
	s_and_b64 s[16:17], s[2:3], s[16:17]
	v_mul_u64_e32 v[14:15], s[22:23], v[10:11]
	v_mul_u64_e32 v[4:5], s[16:17], v[10:11]
	s_delay_alu instid0(VALU_DEP_3) | instskip(NEXT) | instid1(VALU_DEP_1)
	v_add_nc_u64_e32 v[12:13], v[16:17], v[12:13]
	v_add_co_u32 v3, vcc_lo, v12, v4
	s_delay_alu instid0(VALU_DEP_2) | instskip(SKIP_1) | instid1(VALU_DEP_1)
	v_add_co_ci_u32_e32 v6, vcc_lo, v13, v5, vcc_lo
	v_add_co_ci_u32_e32 v15, vcc_lo, 0, v15, vcc_lo
	v_add_nc_u64_e32 v[4:5], v[6:7], v[14:15]
	s_delay_alu instid0(VALU_DEP_1) | instskip(NEXT) | instid1(VALU_DEP_1)
	v_mul_u64_e32 v[6:7], s[12:13], v[4:5]
	v_sub_nc_u32_e32 v3, v10, v7
	s_delay_alu instid0(VALU_DEP_2) | instskip(NEXT) | instid1(VALU_DEP_1)
	v_sub_co_u32 v6, vcc_lo, v8, v6
	v_sub_co_ci_u32_e64 v10, null, v10, v7, vcc_lo
	s_delay_alu instid0(VALU_DEP_3) | instskip(NEXT) | instid1(VALU_DEP_3)
	v_subrev_co_ci_u32_e64 v3, null, s13, v3, vcc_lo
	v_sub_co_u32 v8, s2, v6, s12
	s_delay_alu instid0(VALU_DEP_1) | instskip(NEXT) | instid1(VALU_DEP_2)
	v_subrev_co_ci_u32_e64 v3, null, 0, v3, s2
	v_cmp_le_u32_e32 vcc_lo, s12, v8
	v_cndmask_b32_e64 v7, 0, -1, vcc_lo
	s_delay_alu instid0(VALU_DEP_3)
	v_cmp_le_u32_e32 vcc_lo, s13, v3
	v_cndmask_b32_e64 v8, 0, -1, vcc_lo
	v_cmp_le_u32_e32 vcc_lo, s12, v6
	v_cndmask_b32_e64 v11, 0, -1, vcc_lo
	;; [unrolled: 2-line block ×3, first 2 shown]
	v_cmp_eq_u32_e32 vcc_lo, s13, v3
	v_cndmask_b32_e32 v3, v8, v7, vcc_lo
	v_cmp_eq_u32_e32 vcc_lo, s13, v10
	v_add_nc_u64_e32 v[6:7], 2, v[4:5]
	v_add_nc_u64_e32 v[8:9], 1, v[4:5]
	v_cndmask_b32_e32 v10, v12, v11, vcc_lo
	v_cmp_ne_u32_e32 vcc_lo, 0, v3
	s_delay_alu instid0(VALU_DEP_2) | instskip(NEXT) | instid1(VALU_DEP_4)
	v_cmp_ne_u32_e64 s2, 0, v10
	v_dual_cndmask_b32 v3, v9, v7, vcc_lo :: v_dual_cndmask_b32 v7, v8, v6, vcc_lo
	s_delay_alu instid0(VALU_DEP_1) | instskip(NEXT) | instid1(VALU_DEP_1)
	v_dual_cndmask_b32 v4, v4, v7, s2 :: v_dual_bitop2_b32 v6, s4, v2 bitop3:0x14
	v_dual_cndmask_b32 v3, v5, v3, s2 :: v_dual_mov_b32 v7, v6
	s_delay_alu instid0(VALU_DEP_2) | instskip(NEXT) | instid1(VALU_DEP_2)
	v_xor_b32_e32 v4, v4, v6
	v_xor_b32_e32 v5, v3, v6
	s_delay_alu instid0(VALU_DEP_1)
	v_sub_nc_u64_e32 v[4:5], v[4:5], v[6:7]
.LBB10_3:
	s_and_not1_saveexec_b32 s2, s14
	s_cbranch_execz .LBB10_5
; %bb.4:
	v_cvt_f32_u32_e32 v3, s8
	s_sub_co_i32 s4, 0, s8
	s_delay_alu instid0(VALU_DEP_1) | instskip(SKIP_1) | instid1(TRANS32_DEP_1)
	v_rcp_iflag_f32_e32 v3, v3
	v_nop
	v_mul_f32_e32 v3, 0x4f7ffffe, v3
	s_delay_alu instid0(VALU_DEP_1) | instskip(NEXT) | instid1(VALU_DEP_1)
	v_cvt_u32_f32_e32 v3, v3
	v_mul_lo_u32 v4, s4, v3
	s_delay_alu instid0(VALU_DEP_1) | instskip(NEXT) | instid1(VALU_DEP_1)
	v_mul_hi_u32 v4, v3, v4
	v_add_nc_u32_e32 v3, v3, v4
	s_delay_alu instid0(VALU_DEP_1) | instskip(NEXT) | instid1(VALU_DEP_1)
	v_mul_hi_u32 v3, v0, v3
	v_mul_lo_u32 v4, v3, s8
	s_delay_alu instid0(VALU_DEP_1) | instskip(NEXT) | instid1(VALU_DEP_1)
	v_dual_add_nc_u32 v5, 1, v3 :: v_dual_sub_nc_u32 v4, v0, v4
	v_subrev_nc_u32_e32 v6, s8, v4
	v_cmp_le_u32_e32 vcc_lo, s8, v4
	s_delay_alu instid0(VALU_DEP_2) | instskip(NEXT) | instid1(VALU_DEP_1)
	v_dual_cndmask_b32 v4, v4, v6 :: v_dual_cndmask_b32 v3, v3, v5
	v_cmp_le_u32_e32 vcc_lo, s8, v4
	s_delay_alu instid0(VALU_DEP_2) | instskip(NEXT) | instid1(VALU_DEP_1)
	v_add_nc_u32_e32 v5, 1, v3
	v_dual_cndmask_b32 v4, v3, v5 :: v_dual_mov_b32 v5, 0
.LBB10_5:
	s_or_b32 exec_lo, exec_lo, s2
	s_delay_alu instid0(VALU_DEP_1) | instskip(SKIP_1) | instid1(VALU_DEP_1)
	v_dual_mov_b32 v8, 0 :: v_dual_bitop2_b32 v9, s7, v5 bitop3:0x54
                                        ; implicit-def: $vgpr6_vgpr7
	s_mov_b32 s2, exec_lo
	v_cmpx_ne_u64_e32 0, v[8:9]
	s_xor_b32 s12, exec_lo, s2
	s_cbranch_execz .LBB10_7
; %bb.6:
	s_ashr_i32 s4, s7, 31
	s_mov_b32 s21, 0
	s_mov_b32 s5, s4
	v_dual_mov_b32 v13, v8 :: v_dual_ashrrev_i32 v6, 31, v5
	s_add_nc_u64 s[14:15], s[6:7], s[4:5]
	v_mov_b32_e32 v15, v8
	s_xor_b64 s[4:5], s[14:15], s[4:5]
	s_delay_alu instid0(VALU_DEP_2)
	v_mov_b32_e32 v7, v6
	s_cvt_f32_u32 s2, s4
	s_cvt_f32_u32 s7, s5
	s_sub_nc_u64 s[16:17], 0, s[4:5]
	v_mov_b32_e32 v21, v8
	v_add_nc_u64_e32 v[10:11], v[4:5], v[6:7]
	s_fmamk_f32 s2, s7, 0x4f800000, s2
	v_mov_b32_e32 v9, v8
	s_delay_alu instid0(SALU_CYCLE_2) | instskip(NEXT) | instid1(VALU_DEP_2)
	v_s_rcp_f32 s2, s2
	v_xor_b32_e32 v12, v10, v6
	s_delay_alu instid0(VALU_DEP_3) | instskip(NEXT) | instid1(TRANS32_DEP_1)
	v_xor_b32_e32 v14, v11, v6
	s_mul_f32 s2, s2, 0x5f7ffffc
	s_delay_alu instid0(SALU_CYCLE_3) | instskip(NEXT) | instid1(SALU_CYCLE_3)
	s_mul_f32 s7, s2, 0x2f800000
	s_trunc_f32 s7, s7
	s_delay_alu instid0(SALU_CYCLE_3) | instskip(SKIP_1) | instid1(SALU_CYCLE_2)
	s_fmamk_f32 s2, s7, 0xcf800000, s2
	s_cvt_u32_f32 s15, s7
	s_cvt_u32_f32 s14, s2
	s_delay_alu instid0(SALU_CYCLE_3) | instskip(NEXT) | instid1(SALU_CYCLE_1)
	s_mul_u64 s[18:19], s[16:17], s[14:15]
	s_mul_hi_u32 s23, s14, s19
	s_mul_i32 s22, s14, s19
	s_mul_hi_u32 s20, s14, s18
	s_mul_i32 s7, s15, s18
	s_add_nc_u64 s[22:23], s[20:21], s[22:23]
	s_mul_hi_u32 s2, s15, s18
	s_mul_hi_u32 s13, s15, s19
	s_add_co_u32 s7, s22, s7
	s_add_co_ci_u32 s20, s23, s2
	s_mul_i32 s18, s15, s19
	s_add_co_ci_u32 s19, s13, 0
	s_delay_alu instid0(SALU_CYCLE_1) | instskip(NEXT) | instid1(SALU_CYCLE_1)
	s_add_nc_u64 s[18:19], s[20:21], s[18:19]
	s_add_co_u32 s14, s14, s18
	s_cselect_b32 s2, -1, 0
	s_delay_alu instid0(SALU_CYCLE_1) | instskip(SKIP_1) | instid1(SALU_CYCLE_1)
	s_cmp_lg_u32 s2, 0
	s_add_co_ci_u32 s15, s15, s19
	s_mul_u64 s[16:17], s[16:17], s[14:15]
	s_delay_alu instid0(SALU_CYCLE_1)
	s_mul_hi_u32 s19, s14, s17
	s_mul_i32 s18, s14, s17
	s_mul_hi_u32 s20, s14, s16
	s_mul_i32 s7, s15, s16
	s_add_nc_u64 s[18:19], s[20:21], s[18:19]
	s_mul_hi_u32 s2, s15, s16
	s_mul_hi_u32 s13, s15, s17
	s_add_co_u32 s7, s18, s7
	s_add_co_ci_u32 s20, s19, s2
	s_mul_i32 s16, s15, s17
	s_add_co_ci_u32 s17, s13, 0
	s_delay_alu instid0(SALU_CYCLE_1) | instskip(NEXT) | instid1(SALU_CYCLE_1)
	s_add_nc_u64 s[16:17], s[20:21], s[16:17]
	s_add_co_u32 s2, s14, s16
	s_cselect_b32 s7, -1, 0
	v_mul_hi_u32 v20, v12, s2
	s_cmp_lg_u32 s7, 0
	s_add_co_ci_u32 s20, s15, s17
	s_mov_b64 s[14:15], 0xffffffff
	v_mul_u64_e32 v[16:17], s[20:21], v[12:13]
	s_and_b64 s[14:15], s[2:3], s[14:15]
	v_mul_u64_e32 v[18:19], s[20:21], v[14:15]
	v_mul_u64_e32 v[10:11], s[14:15], v[14:15]
	s_delay_alu instid0(VALU_DEP_3) | instskip(NEXT) | instid1(VALU_DEP_1)
	v_add_nc_u64_e32 v[16:17], v[20:21], v[16:17]
	v_add_co_u32 v3, vcc_lo, v16, v10
	s_delay_alu instid0(VALU_DEP_2) | instskip(SKIP_1) | instid1(VALU_DEP_1)
	v_add_co_ci_u32_e32 v8, vcc_lo, v17, v11, vcc_lo
	v_add_co_ci_u32_e32 v19, vcc_lo, 0, v19, vcc_lo
	v_add_nc_u64_e32 v[8:9], v[8:9], v[18:19]
	s_delay_alu instid0(VALU_DEP_1) | instskip(NEXT) | instid1(VALU_DEP_1)
	v_mul_u64_e32 v[8:9], s[4:5], v[8:9]
	v_sub_co_u32 v8, vcc_lo, v12, v8
	s_delay_alu instid0(VALU_DEP_1) | instskip(NEXT) | instid1(VALU_DEP_1)
	v_cmp_le_u32_e64 s2, s4, v8
	v_cndmask_b32_e64 v12, 0, -1, s2
	s_delay_alu instid0(VALU_DEP_4) | instskip(SKIP_1) | instid1(VALU_DEP_2)
	v_sub_nc_u32_e32 v3, v14, v9
	v_sub_co_ci_u32_e64 v9, null, v14, v9, vcc_lo
	v_subrev_co_ci_u32_e64 v3, null, s5, v3, vcc_lo
	v_sub_co_u32 v10, vcc_lo, v8, s4
	s_delay_alu instid0(VALU_DEP_1) | instskip(NEXT) | instid1(VALU_DEP_2)
	v_subrev_co_ci_u32_e64 v11, null, 0, v3, vcc_lo
	v_cmp_le_u32_e64 s2, s4, v10
	v_subrev_co_ci_u32_e64 v3, null, s5, v3, vcc_lo
	v_cmp_le_u32_e32 vcc_lo, s5, v9
	s_delay_alu instid0(VALU_DEP_3) | instskip(SKIP_3) | instid1(VALU_DEP_3)
	v_cndmask_b32_e64 v13, 0, -1, s2
	v_cmp_le_u32_e64 s2, s5, v11
	v_cndmask_b32_e64 v15, 0, -1, vcc_lo
	v_cmp_eq_u32_e32 vcc_lo, s5, v11
	v_cndmask_b32_e64 v14, 0, -1, s2
	v_cmp_eq_u32_e64 s2, s5, v9
	s_delay_alu instid0(VALU_DEP_2) | instskip(SKIP_1) | instid1(VALU_DEP_1)
	v_cndmask_b32_e32 v13, v14, v13, vcc_lo
	v_sub_co_u32 v14, vcc_lo, v10, s4
	v_subrev_co_ci_u32_e64 v3, null, 0, v3, vcc_lo
	s_delay_alu instid0(VALU_DEP_3) | instskip(SKIP_1) | instid1(VALU_DEP_3)
	v_cmp_ne_u32_e32 vcc_lo, 0, v13
	v_cndmask_b32_e64 v12, v15, v12, s2
	v_dual_cndmask_b32 v3, v11, v3 :: v_dual_cndmask_b32 v10, v10, v14
	s_delay_alu instid0(VALU_DEP_2) | instskip(NEXT) | instid1(VALU_DEP_2)
	v_cmp_ne_u32_e32 vcc_lo, 0, v12
	v_dual_cndmask_b32 v3, v9, v3 :: v_dual_cndmask_b32 v8, v8, v10
	s_delay_alu instid0(VALU_DEP_1) | instskip(NEXT) | instid1(VALU_DEP_2)
	v_xor_b32_e32 v9, v3, v6
	v_xor_b32_e32 v8, v8, v6
	s_delay_alu instid0(VALU_DEP_1)
	v_sub_nc_u64_e32 v[6:7], v[8:9], v[6:7]
.LBB10_7:
	s_and_not1_saveexec_b32 s2, s12
	s_cbranch_execz .LBB10_9
; %bb.8:
	v_cvt_f32_u32_e32 v3, s6
	s_sub_co_i32 s4, 0, s6
	s_delay_alu instid0(VALU_DEP_1) | instskip(SKIP_1) | instid1(TRANS32_DEP_1)
	v_rcp_iflag_f32_e32 v3, v3
	v_nop
	v_mul_f32_e32 v3, 0x4f7ffffe, v3
	s_delay_alu instid0(VALU_DEP_1) | instskip(NEXT) | instid1(VALU_DEP_1)
	v_cvt_u32_f32_e32 v3, v3
	v_mul_lo_u32 v6, s4, v3
	s_delay_alu instid0(VALU_DEP_1) | instskip(NEXT) | instid1(VALU_DEP_1)
	v_mul_hi_u32 v6, v3, v6
	v_add_nc_u32_e32 v3, v3, v6
	s_delay_alu instid0(VALU_DEP_1) | instskip(NEXT) | instid1(VALU_DEP_1)
	v_mul_hi_u32 v3, v4, v3
	v_mul_lo_u32 v3, v3, s6
	s_delay_alu instid0(VALU_DEP_1) | instskip(NEXT) | instid1(VALU_DEP_1)
	v_sub_nc_u32_e32 v3, v4, v3
	v_subrev_nc_u32_e32 v6, s6, v3
	v_cmp_le_u32_e32 vcc_lo, s6, v3
	s_delay_alu instid0(VALU_DEP_2) | instskip(NEXT) | instid1(VALU_DEP_1)
	v_cndmask_b32_e32 v3, v3, v6, vcc_lo
	v_subrev_nc_u32_e32 v6, s6, v3
	v_cmp_le_u32_e32 vcc_lo, s6, v3
	s_delay_alu instid0(VALU_DEP_2)
	v_cndmask_b32_e32 v6, v3, v6, vcc_lo
.LBB10_9:
	s_or_b32 exec_lo, exec_lo, s2
	v_dual_mov_b32 v10, 0 :: v_dual_bitop2_b32 v11, s11, v1 bitop3:0x54
                                        ; implicit-def: $vgpr8_vgpr9
	s_mov_b32 s2, exec_lo
	s_delay_alu instid0(VALU_DEP_1)
	v_cmpx_ne_u64_e32 0, v[10:11]
	s_xor_b32 s12, exec_lo, s2
	s_cbranch_execz .LBB10_11
; %bb.10:
	s_ashr_i32 s4, s11, 31
	s_mov_b32 s21, 0
	s_mov_b32 s5, s4
	v_dual_mov_b32 v3, v2 :: v_dual_mov_b32 v13, v10
	s_add_nc_u64 s[6:7], s[10:11], s[4:5]
	v_mov_b32_e32 v11, v10
	s_xor_b64 s[6:7], s[6:7], s[4:5]
	s_delay_alu instid0(VALU_DEP_2) | instskip(SKIP_4) | instid1(SALU_CYCLE_1)
	v_add_nc_u64_e32 v[8:9], v[0:1], v[2:3]
	s_cvt_f32_u32 s2, s6
	s_cvt_f32_u32 s5, s7
	s_sub_nc_u64 s[16:17], 0, s[6:7]
	v_dual_mov_b32 v15, v10 :: v_dual_mov_b32 v21, v10
	s_fmamk_f32 s2, s5, 0x4f800000, s2
	s_delay_alu instid0(VALU_DEP_2) | instskip(SKIP_3) | instid1(TRANS32_DEP_1)
	v_xor_b32_e32 v12, v8, v2
	v_xor_b32_e32 v14, v9, v2
	;; [unrolled: 1-line block ×3, first 2 shown]
	v_s_rcp_f32 s2, s2
	s_mul_f32 s2, s2, 0x5f7ffffc
	s_delay_alu instid0(SALU_CYCLE_3) | instskip(NEXT) | instid1(SALU_CYCLE_3)
	s_mul_f32 s5, s2, 0x2f800000
	s_trunc_f32 s5, s5
	s_delay_alu instid0(SALU_CYCLE_3) | instskip(SKIP_1) | instid1(SALU_CYCLE_2)
	s_fmamk_f32 s2, s5, 0xcf800000, s2
	s_cvt_u32_f32 s15, s5
	s_cvt_u32_f32 s14, s2
	s_delay_alu instid0(SALU_CYCLE_3) | instskip(NEXT) | instid1(SALU_CYCLE_1)
	s_mul_u64 s[18:19], s[16:17], s[14:15]
	s_mul_hi_u32 s23, s14, s19
	s_mul_i32 s22, s14, s19
	s_mul_hi_u32 s20, s14, s18
	s_mul_i32 s5, s15, s18
	s_add_nc_u64 s[22:23], s[20:21], s[22:23]
	s_mul_hi_u32 s2, s15, s18
	s_mul_hi_u32 s11, s15, s19
	s_add_co_u32 s5, s22, s5
	s_add_co_ci_u32 s20, s23, s2
	s_mul_i32 s18, s15, s19
	s_add_co_ci_u32 s19, s11, 0
	s_delay_alu instid0(SALU_CYCLE_1) | instskip(NEXT) | instid1(SALU_CYCLE_1)
	s_add_nc_u64 s[18:19], s[20:21], s[18:19]
	s_add_co_u32 s14, s14, s18
	s_cselect_b32 s2, -1, 0
	s_delay_alu instid0(SALU_CYCLE_1) | instskip(SKIP_1) | instid1(SALU_CYCLE_1)
	s_cmp_lg_u32 s2, 0
	s_add_co_ci_u32 s15, s15, s19
	s_mul_u64 s[16:17], s[16:17], s[14:15]
	s_delay_alu instid0(SALU_CYCLE_1)
	s_mul_hi_u32 s19, s14, s17
	s_mul_i32 s18, s14, s17
	s_mul_hi_u32 s20, s14, s16
	s_mul_i32 s5, s15, s16
	s_add_nc_u64 s[18:19], s[20:21], s[18:19]
	s_mul_hi_u32 s2, s15, s16
	s_mul_hi_u32 s11, s15, s17
	s_add_co_u32 s5, s18, s5
	s_add_co_ci_u32 s20, s19, s2
	s_mul_i32 s16, s15, s17
	s_add_co_ci_u32 s17, s11, 0
	s_delay_alu instid0(SALU_CYCLE_1) | instskip(NEXT) | instid1(SALU_CYCLE_1)
	s_add_nc_u64 s[16:17], s[20:21], s[16:17]
	s_add_co_u32 s2, s14, s16
	s_cselect_b32 s5, -1, 0
	v_nop
	v_mul_hi_u32 v20, v12, s2
	s_cmp_lg_u32 s5, 0
	s_add_co_ci_u32 s20, s15, s17
	s_mov_b64 s[14:15], 0xffffffff
	v_mul_u64_e32 v[16:17], s[20:21], v[12:13]
	s_and_b64 s[14:15], s[2:3], s[14:15]
	v_mul_u64_e32 v[18:19], s[20:21], v[14:15]
	v_mul_u64_e32 v[8:9], s[14:15], v[14:15]
	s_delay_alu instid0(VALU_DEP_3) | instskip(NEXT) | instid1(VALU_DEP_1)
	v_add_nc_u64_e32 v[16:17], v[20:21], v[16:17]
	v_add_co_u32 v3, vcc_lo, v16, v8
	s_delay_alu instid0(VALU_DEP_2) | instskip(SKIP_1) | instid1(VALU_DEP_1)
	v_add_co_ci_u32_e32 v10, vcc_lo, v17, v9, vcc_lo
	v_add_co_ci_u32_e32 v19, vcc_lo, 0, v19, vcc_lo
	v_add_nc_u64_e32 v[8:9], v[10:11], v[18:19]
	s_delay_alu instid0(VALU_DEP_1) | instskip(NEXT) | instid1(VALU_DEP_1)
	v_mul_u64_e32 v[10:11], s[6:7], v[8:9]
	v_sub_co_u32 v7, vcc_lo, v12, v10
	v_add_nc_u64_e32 v[12:13], 1, v[8:9]
	s_delay_alu instid0(VALU_DEP_3) | instskip(SKIP_1) | instid1(VALU_DEP_4)
	v_sub_nc_u32_e32 v3, v14, v11
	v_sub_co_ci_u32_e64 v14, null, v14, v11, vcc_lo
	v_sub_co_u32 v10, s2, v7, s6
	s_delay_alu instid0(VALU_DEP_3) | instskip(NEXT) | instid1(VALU_DEP_2)
	v_subrev_co_ci_u32_e64 v3, null, s7, v3, vcc_lo
	v_cmp_le_u32_e32 vcc_lo, s6, v10
	s_delay_alu instid0(VALU_DEP_2) | instskip(SKIP_1) | instid1(VALU_DEP_2)
	v_subrev_co_ci_u32_e64 v3, null, 0, v3, s2
	v_cndmask_b32_e64 v10, 0, -1, vcc_lo
	v_cmp_le_u32_e32 vcc_lo, s7, v3
	v_cndmask_b32_e64 v11, 0, -1, vcc_lo
	v_cmp_le_u32_e32 vcc_lo, s6, v7
	;; [unrolled: 2-line block ×3, first 2 shown]
	v_cndmask_b32_e64 v15, 0, -1, vcc_lo
	v_cmp_eq_u32_e32 vcc_lo, s7, v3
	v_cndmask_b32_e32 v3, v11, v10, vcc_lo
	v_cmp_eq_u32_e32 vcc_lo, s7, v14
	v_add_nc_u64_e32 v[10:11], 2, v[8:9]
	v_cndmask_b32_e32 v7, v15, v7, vcc_lo
	s_delay_alu instid0(VALU_DEP_4) | instskip(NEXT) | instid1(VALU_DEP_2)
	v_cmp_ne_u32_e32 vcc_lo, 0, v3
	v_cmp_ne_u32_e64 s2, 0, v7
	s_delay_alu instid0(VALU_DEP_4) | instskip(NEXT) | instid1(VALU_DEP_1)
	v_dual_cndmask_b32 v3, v13, v11, vcc_lo :: v_dual_cndmask_b32 v7, v12, v10, vcc_lo
	v_dual_cndmask_b32 v9, v9, v3, s2 :: v_dual_mov_b32 v3, v2
	s_delay_alu instid0(VALU_DEP_1) | instskip(NEXT) | instid1(VALU_DEP_1)
	v_dual_cndmask_b32 v7, v8, v7, s2 :: v_dual_bitop2_b32 v9, v9, v2 bitop3:0x14
	v_xor_b32_e32 v8, v7, v2
	s_delay_alu instid0(VALU_DEP_1)
	v_sub_nc_u64_e32 v[8:9], v[8:9], v[2:3]
.LBB10_11:
	s_and_not1_saveexec_b32 s2, s12
	s_cbranch_execz .LBB10_13
; %bb.12:
	v_cvt_f32_u32_e32 v2, s10
	s_sub_co_i32 s4, 0, s10
	s_delay_alu instid0(VALU_DEP_1) | instskip(SKIP_1) | instid1(TRANS32_DEP_1)
	v_rcp_iflag_f32_e32 v2, v2
	v_nop
	v_mul_f32_e32 v2, 0x4f7ffffe, v2
	s_delay_alu instid0(VALU_DEP_1) | instskip(NEXT) | instid1(VALU_DEP_1)
	v_cvt_u32_f32_e32 v2, v2
	v_mul_lo_u32 v3, s4, v2
	s_delay_alu instid0(VALU_DEP_1) | instskip(NEXT) | instid1(VALU_DEP_1)
	v_mul_hi_u32 v3, v2, v3
	v_add_nc_u32_e32 v2, v2, v3
	s_delay_alu instid0(VALU_DEP_1) | instskip(NEXT) | instid1(VALU_DEP_1)
	v_mul_hi_u32 v2, v0, v2
	v_mul_lo_u32 v3, v2, s10
	s_delay_alu instid0(VALU_DEP_1) | instskip(NEXT) | instid1(VALU_DEP_1)
	v_dual_add_nc_u32 v7, 1, v2 :: v_dual_sub_nc_u32 v3, v0, v3
	v_subrev_nc_u32_e32 v8, s10, v3
	v_cmp_le_u32_e32 vcc_lo, s10, v3
	s_delay_alu instid0(VALU_DEP_2) | instskip(NEXT) | instid1(VALU_DEP_1)
	v_dual_cndmask_b32 v3, v3, v8 :: v_dual_cndmask_b32 v2, v2, v7
	v_cmp_le_u32_e32 vcc_lo, s10, v3
	s_delay_alu instid0(VALU_DEP_2) | instskip(NEXT) | instid1(VALU_DEP_1)
	v_add_nc_u32_e32 v7, 1, v2
	v_cndmask_b32_e32 v8, v2, v7, vcc_lo
.LBB10_13:
	s_or_b32 exec_lo, exec_lo, s2
	v_mul_u64_e32 v[2:3], s[8:9], v[4:5]
	s_clause 0x1
	s_load_b128 s[20:23], s[0:1], 0xb0
	s_load_b512 s[4:19], s[0:1], 0x18
	s_bfe_u32 s2, ttmp6, 0x40014
	s_wait_kmcnt 0x0
	s_bfe_u32 s7, ttmp6, 0x40010
	s_lshr_b32 s24, ttmp7, 16
	s_and_b32 s5, ttmp7, 0xffff
	s_add_co_i32 s2, s2, 1
	s_add_co_i32 s7, s7, 1
	s_bfe_u32 s25, ttmp6, 0x40008
	s_bfe_u32 s9, ttmp6, 0x40004
	s_mul_i32 s2, s24, s2
	s_mul_i32 s7, s5, s7
	s_add_co_i32 s25, s25, s2
	s_add_co_i32 s9, s9, s7
	s_cmp_eq_u32 s3, 0
	s_load_b64 s[2:3], s[0:1], 0xa8
	s_cselect_b32 s7, s5, s9
	s_cselect_b32 s9, s24, s25
	v_dual_ashrrev_i32 v9, 31, v8 :: v_dual_ashrrev_i32 v7, 31, v6
	s_sub_co_i32 s25, 0, s20
	s_add_co_i32 s4, s20, s4
	s_max_i32 s28, s20, 0
	s_add_co_i32 s4, s4, -1
	s_add_co_i32 s6, s21, s6
	s_max_i32 s25, s25, 0
	s_add_co_i32 s6, s6, -1
	s_sub_co_i32 s24, 0, s21
	s_sub_co_i32 s5, 0, s22
	s_max_i32 s27, s21, 0
	s_add_co_i32 s8, s22, s8
	v_sub_nc_u64_e32 v[0:1], v[0:1], v[2:3]
	v_maxmin_i32 v2, s20, v8, s4
	s_sub_co_i32 s4, s25, s28
	v_maxmin_i32 v3, s21, v6, s6
	s_max_i32 s24, s24, 0
	s_max_i32 s26, s22, 0
	v_add_nc_u32_e32 v2, s4, v2
	s_max_i32 s5, s5, 0
	s_add_co_i32 s8, s8, -1
	s_sub_co_i32 s4, s24, s27
	v_maxmin_i32 v5, s22, v0, s8
	s_sub_co_i32 s5, s5, s26
	v_dual_add_nc_u32 v4, s4, v3 :: v_dual_ashrrev_i32 v3, 31, v2
	s_clause 0x1
	s_load_b256 s[24:31], s[0:1], 0x88
	s_load_b32 s6, s[0:1], 0xc0
	s_delay_alu instid0(VALU_DEP_1) | instskip(SKIP_3) | instid1(VALU_DEP_2)
	v_dual_add_nc_u32 v10, s5, v5 :: v_dual_ashrrev_i32 v5, 31, v4
	v_mul_u64_e32 v[2:3], s[14:15], v[2:3]
	s_load_b64 s[4:5], s[0:1], 0x0
	s_add_co_i32 s8, s23, s7
	v_ashrrev_i32_e32 v11, 31, v10
	v_mul_u64_e32 v[4:5], s[16:17], v[4:5]
	s_wait_xcnt 0x0
	s_load_b64 s[0:1], s[0:1], 0x58
	s_wait_kmcnt 0x0
	v_mul_u64_e32 v[12:13], s[2:3], v[0:1]
	v_mul_u64_e32 v[10:11], s[18:19], v[10:11]
	;; [unrolled: 1-line block ×3, first 2 shown]
	s_add_co_i32 s6, s6, s9
	v_mul_u64_e32 v[6:7], s[30:31], v[6:7]
	s_ashr_i32 s7, s6, 31
	s_ashr_i32 s9, s8, 31
	s_mul_u64 s[10:11], s[10:11], s[6:7]
	s_mul_u64 s[12:13], s[12:13], s[8:9]
	s_lshl_b64 s[10:11], s[10:11], 1
	s_lshl_b64 s[12:13], s[12:13], 1
	s_add_nc_u64 s[4:5], s[4:5], s[10:11]
	s_delay_alu instid0(SALU_CYCLE_1) | instskip(SKIP_1) | instid1(SALU_CYCLE_1)
	s_add_nc_u64 s[2:3], s[4:5], s[12:13]
	s_mul_u64 s[4:5], s[26:27], s[8:9]
	s_lshl_b64 s[4:5], s[4:5], 1
	v_lshl_add_u64 v[0:1], v[2:3], 1, s[2:3]
	s_mul_u64 s[2:3], s[24:25], s[6:7]
	s_delay_alu instid0(SALU_CYCLE_1) | instskip(NEXT) | instid1(VALU_DEP_1)
	s_lshl_b64 s[2:3], s[2:3], 1
	v_lshl_add_u64 v[0:1], v[4:5], 1, v[0:1]
	s_add_nc_u64 s[0:1], s[0:1], s[2:3]
	s_mov_b32 s2, 0
	s_add_nc_u64 s[0:1], s[0:1], s[4:5]
	s_delay_alu instid0(VALU_DEP_1) | instskip(NEXT) | instid1(VALU_DEP_1)
	v_lshl_add_u64 v[0:1], v[10:11], 1, v[0:1]
	v_dual_mov_b32 v11, 0 :: v_dual_bitop2_b32 v10, 2, v0 bitop3:0x40
	v_lshl_add_u64 v[2:3], v[8:9], 1, s[0:1]
	s_delay_alu instid0(VALU_DEP_2) | instskip(NEXT) | instid1(VALU_DEP_2)
	v_sub_nc_u64_e32 v[4:5], 0, v[10:11]
	v_lshl_add_u64 v[2:3], v[6:7], 1, v[2:3]
	v_cmp_ne_u32_e64 s0, 0, v10
	v_cmp_eq_u64_e32 vcc_lo, 0, v[10:11]
	s_delay_alu instid0(VALU_DEP_3)
	v_lshl_add_u64 v[6:7], v[12:13], 1, v[2:3]
	v_add_nc_u64_e32 v[0:1], v[0:1], v[4:5]
	global_load_u16 v4, v[6:7], off
	global_load_b32 v3, v[0:1], off
	s_branch .LBB10_15
.LBB10_14:                              ;   in Loop: Header=BB10_15 Depth=1
	s_or_b32 exec_lo, exec_lo, s1
	global_atomic_cmpswap_b32 v2, v[0:1], v[2:3], off th:TH_ATOMIC_RETURN scope:SCOPE_DEV
	s_wait_loadcnt 0x0
	v_cmp_eq_u32_e64 s1, v3, v2
	v_mov_b32_e32 v3, v2
	s_or_b32 s2, s1, s2
	s_delay_alu instid0(SALU_CYCLE_1)
	s_and_not1_b32 exec_lo, exec_lo, s2
	s_cbranch_execz .LBB10_19
.LBB10_15:                              ; =>This Inner Loop Header: Depth=1
	s_wait_loadcnt 0x0
	v_lshrrev_b32_e32 v2, 16, v3
	s_delay_alu instid0(VALU_DEP_1) | instskip(NEXT) | instid1(VALU_DEP_1)
	v_cndmask_b32_e32 v2, v2, v3, vcc_lo
	v_add_f16_e32 v2, v4, v2
	s_delay_alu instid0(VALU_DEP_1) | instskip(SKIP_1) | instid1(SALU_CYCLE_1)
	v_and_b32_e32 v5, 0xffff, v2
	s_and_saveexec_b32 s1, s0
	s_xor_b32 s1, exec_lo, s1
; %bb.16:                               ;   in Loop: Header=BB10_15 Depth=1
	v_and_b32_e32 v2, 0xffff, v3
	s_delay_alu instid0(VALU_DEP_1)
	v_lshl_or_b32 v2, v5, 16, v2
                                        ; implicit-def: $vgpr5
; %bb.17:                               ;   in Loop: Header=BB10_15 Depth=1
	s_and_not1_saveexec_b32 s1, s1
	s_cbranch_execz .LBB10_14
; %bb.18:                               ;   in Loop: Header=BB10_15 Depth=1
	v_and_or_b32 v2, 0xffff0000, v3, v5
	s_branch .LBB10_14
.LBB10_19:
	s_endpgm
	.section	.rodata,"a",@progbits
	.p2align	6, 0x0
	.amdhsa_kernel _ZN2at6native12_GLOBAL__N_131replication_pad_backward_kernelIN3c104HalfEEEvN5torch10headeronly6detail27GenericPackedTensorAccessorINS7_14TensorAccessorINS3_8ArrayRefIlEET_Lm4ENS6_16DefaultPtrTraitsElEENS_6detail16IndexBoundsCheckILm5ElEESC_Lm5ESD_lEENS8_INS9_ISB_KSC_Lm4ESD_lEESH_SJ_Lm5ESD_lEEiiiii
		.amdhsa_group_segment_fixed_size 0
		.amdhsa_private_segment_fixed_size 0
		.amdhsa_kernarg_size 456
		.amdhsa_user_sgpr_count 2
		.amdhsa_user_sgpr_dispatch_ptr 0
		.amdhsa_user_sgpr_queue_ptr 0
		.amdhsa_user_sgpr_kernarg_segment_ptr 1
		.amdhsa_user_sgpr_dispatch_id 0
		.amdhsa_user_sgpr_kernarg_preload_length 0
		.amdhsa_user_sgpr_kernarg_preload_offset 0
		.amdhsa_user_sgpr_private_segment_size 0
		.amdhsa_wavefront_size32 1
		.amdhsa_uses_dynamic_stack 0
		.amdhsa_enable_private_segment 0
		.amdhsa_system_sgpr_workgroup_id_x 1
		.amdhsa_system_sgpr_workgroup_id_y 1
		.amdhsa_system_sgpr_workgroup_id_z 1
		.amdhsa_system_sgpr_workgroup_info 0
		.amdhsa_system_vgpr_workitem_id 0
		.amdhsa_next_free_vgpr 22
		.amdhsa_next_free_sgpr 32
		.amdhsa_named_barrier_count 0
		.amdhsa_reserve_vcc 1
		.amdhsa_float_round_mode_32 0
		.amdhsa_float_round_mode_16_64 0
		.amdhsa_float_denorm_mode_32 3
		.amdhsa_float_denorm_mode_16_64 3
		.amdhsa_fp16_overflow 0
		.amdhsa_memory_ordered 1
		.amdhsa_forward_progress 1
		.amdhsa_inst_pref_size 24
		.amdhsa_round_robin_scheduling 0
		.amdhsa_exception_fp_ieee_invalid_op 0
		.amdhsa_exception_fp_denorm_src 0
		.amdhsa_exception_fp_ieee_div_zero 0
		.amdhsa_exception_fp_ieee_overflow 0
		.amdhsa_exception_fp_ieee_underflow 0
		.amdhsa_exception_fp_ieee_inexact 0
		.amdhsa_exception_int_div_zero 0
	.end_amdhsa_kernel
	.section	.text._ZN2at6native12_GLOBAL__N_131replication_pad_backward_kernelIN3c104HalfEEEvN5torch10headeronly6detail27GenericPackedTensorAccessorINS7_14TensorAccessorINS3_8ArrayRefIlEET_Lm4ENS6_16DefaultPtrTraitsElEENS_6detail16IndexBoundsCheckILm5ElEESC_Lm5ESD_lEENS8_INS9_ISB_KSC_Lm4ESD_lEESH_SJ_Lm5ESD_lEEiiiii,"axG",@progbits,_ZN2at6native12_GLOBAL__N_131replication_pad_backward_kernelIN3c104HalfEEEvN5torch10headeronly6detail27GenericPackedTensorAccessorINS7_14TensorAccessorINS3_8ArrayRefIlEET_Lm4ENS6_16DefaultPtrTraitsElEENS_6detail16IndexBoundsCheckILm5ElEESC_Lm5ESD_lEENS8_INS9_ISB_KSC_Lm4ESD_lEESH_SJ_Lm5ESD_lEEiiiii,comdat
.Lfunc_end10:
	.size	_ZN2at6native12_GLOBAL__N_131replication_pad_backward_kernelIN3c104HalfEEEvN5torch10headeronly6detail27GenericPackedTensorAccessorINS7_14TensorAccessorINS3_8ArrayRefIlEET_Lm4ENS6_16DefaultPtrTraitsElEENS_6detail16IndexBoundsCheckILm5ElEESC_Lm5ESD_lEENS8_INS9_ISB_KSC_Lm4ESD_lEESH_SJ_Lm5ESD_lEEiiiii, .Lfunc_end10-_ZN2at6native12_GLOBAL__N_131replication_pad_backward_kernelIN3c104HalfEEEvN5torch10headeronly6detail27GenericPackedTensorAccessorINS7_14TensorAccessorINS3_8ArrayRefIlEET_Lm4ENS6_16DefaultPtrTraitsElEENS_6detail16IndexBoundsCheckILm5ElEESC_Lm5ESD_lEENS8_INS9_ISB_KSC_Lm4ESD_lEESH_SJ_Lm5ESD_lEEiiiii
                                        ; -- End function
	.set _ZN2at6native12_GLOBAL__N_131replication_pad_backward_kernelIN3c104HalfEEEvN5torch10headeronly6detail27GenericPackedTensorAccessorINS7_14TensorAccessorINS3_8ArrayRefIlEET_Lm4ENS6_16DefaultPtrTraitsElEENS_6detail16IndexBoundsCheckILm5ElEESC_Lm5ESD_lEENS8_INS9_ISB_KSC_Lm4ESD_lEESH_SJ_Lm5ESD_lEEiiiii.num_vgpr, 22
	.set _ZN2at6native12_GLOBAL__N_131replication_pad_backward_kernelIN3c104HalfEEEvN5torch10headeronly6detail27GenericPackedTensorAccessorINS7_14TensorAccessorINS3_8ArrayRefIlEET_Lm4ENS6_16DefaultPtrTraitsElEENS_6detail16IndexBoundsCheckILm5ElEESC_Lm5ESD_lEENS8_INS9_ISB_KSC_Lm4ESD_lEESH_SJ_Lm5ESD_lEEiiiii.num_agpr, 0
	.set _ZN2at6native12_GLOBAL__N_131replication_pad_backward_kernelIN3c104HalfEEEvN5torch10headeronly6detail27GenericPackedTensorAccessorINS7_14TensorAccessorINS3_8ArrayRefIlEET_Lm4ENS6_16DefaultPtrTraitsElEENS_6detail16IndexBoundsCheckILm5ElEESC_Lm5ESD_lEENS8_INS9_ISB_KSC_Lm4ESD_lEESH_SJ_Lm5ESD_lEEiiiii.numbered_sgpr, 32
	.set _ZN2at6native12_GLOBAL__N_131replication_pad_backward_kernelIN3c104HalfEEEvN5torch10headeronly6detail27GenericPackedTensorAccessorINS7_14TensorAccessorINS3_8ArrayRefIlEET_Lm4ENS6_16DefaultPtrTraitsElEENS_6detail16IndexBoundsCheckILm5ElEESC_Lm5ESD_lEENS8_INS9_ISB_KSC_Lm4ESD_lEESH_SJ_Lm5ESD_lEEiiiii.num_named_barrier, 0
	.set _ZN2at6native12_GLOBAL__N_131replication_pad_backward_kernelIN3c104HalfEEEvN5torch10headeronly6detail27GenericPackedTensorAccessorINS7_14TensorAccessorINS3_8ArrayRefIlEET_Lm4ENS6_16DefaultPtrTraitsElEENS_6detail16IndexBoundsCheckILm5ElEESC_Lm5ESD_lEENS8_INS9_ISB_KSC_Lm4ESD_lEESH_SJ_Lm5ESD_lEEiiiii.private_seg_size, 0
	.set _ZN2at6native12_GLOBAL__N_131replication_pad_backward_kernelIN3c104HalfEEEvN5torch10headeronly6detail27GenericPackedTensorAccessorINS7_14TensorAccessorINS3_8ArrayRefIlEET_Lm4ENS6_16DefaultPtrTraitsElEENS_6detail16IndexBoundsCheckILm5ElEESC_Lm5ESD_lEENS8_INS9_ISB_KSC_Lm4ESD_lEESH_SJ_Lm5ESD_lEEiiiii.uses_vcc, 1
	.set _ZN2at6native12_GLOBAL__N_131replication_pad_backward_kernelIN3c104HalfEEEvN5torch10headeronly6detail27GenericPackedTensorAccessorINS7_14TensorAccessorINS3_8ArrayRefIlEET_Lm4ENS6_16DefaultPtrTraitsElEENS_6detail16IndexBoundsCheckILm5ElEESC_Lm5ESD_lEENS8_INS9_ISB_KSC_Lm4ESD_lEESH_SJ_Lm5ESD_lEEiiiii.uses_flat_scratch, 0
	.set _ZN2at6native12_GLOBAL__N_131replication_pad_backward_kernelIN3c104HalfEEEvN5torch10headeronly6detail27GenericPackedTensorAccessorINS7_14TensorAccessorINS3_8ArrayRefIlEET_Lm4ENS6_16DefaultPtrTraitsElEENS_6detail16IndexBoundsCheckILm5ElEESC_Lm5ESD_lEENS8_INS9_ISB_KSC_Lm4ESD_lEESH_SJ_Lm5ESD_lEEiiiii.has_dyn_sized_stack, 0
	.set _ZN2at6native12_GLOBAL__N_131replication_pad_backward_kernelIN3c104HalfEEEvN5torch10headeronly6detail27GenericPackedTensorAccessorINS7_14TensorAccessorINS3_8ArrayRefIlEET_Lm4ENS6_16DefaultPtrTraitsElEENS_6detail16IndexBoundsCheckILm5ElEESC_Lm5ESD_lEENS8_INS9_ISB_KSC_Lm4ESD_lEESH_SJ_Lm5ESD_lEEiiiii.has_recursion, 0
	.set _ZN2at6native12_GLOBAL__N_131replication_pad_backward_kernelIN3c104HalfEEEvN5torch10headeronly6detail27GenericPackedTensorAccessorINS7_14TensorAccessorINS3_8ArrayRefIlEET_Lm4ENS6_16DefaultPtrTraitsElEENS_6detail16IndexBoundsCheckILm5ElEESC_Lm5ESD_lEENS8_INS9_ISB_KSC_Lm4ESD_lEESH_SJ_Lm5ESD_lEEiiiii.has_indirect_call, 0
	.section	.AMDGPU.csdata,"",@progbits
; Kernel info:
; codeLenInByte = 3060
; TotalNumSgprs: 34
; NumVgprs: 22
; ScratchSize: 0
; MemoryBound: 0
; FloatMode: 240
; IeeeMode: 1
; LDSByteSize: 0 bytes/workgroup (compile time only)
; SGPRBlocks: 0
; VGPRBlocks: 1
; NumSGPRsForWavesPerEU: 34
; NumVGPRsForWavesPerEU: 22
; NamedBarCnt: 0
; Occupancy: 16
; WaveLimiterHint : 1
; COMPUTE_PGM_RSRC2:SCRATCH_EN: 0
; COMPUTE_PGM_RSRC2:USER_SGPR: 2
; COMPUTE_PGM_RSRC2:TRAP_HANDLER: 0
; COMPUTE_PGM_RSRC2:TGID_X_EN: 1
; COMPUTE_PGM_RSRC2:TGID_Y_EN: 1
; COMPUTE_PGM_RSRC2:TGID_Z_EN: 1
; COMPUTE_PGM_RSRC2:TIDIG_COMP_CNT: 0
	.section	.text._ZN2at6native12_GLOBAL__N_131replication_pad_backward_kernelIN3c108BFloat16EEEvN5torch10headeronly6detail27GenericPackedTensorAccessorINS7_14TensorAccessorINS3_8ArrayRefIlEET_Lm4ENS6_16DefaultPtrTraitsElEENS_6detail16IndexBoundsCheckILm5ElEESC_Lm5ESD_lEENS8_INS9_ISB_KSC_Lm4ESD_lEESH_SJ_Lm5ESD_lEEiiiii,"axG",@progbits,_ZN2at6native12_GLOBAL__N_131replication_pad_backward_kernelIN3c108BFloat16EEEvN5torch10headeronly6detail27GenericPackedTensorAccessorINS7_14TensorAccessorINS3_8ArrayRefIlEET_Lm4ENS6_16DefaultPtrTraitsElEENS_6detail16IndexBoundsCheckILm5ElEESC_Lm5ESD_lEENS8_INS9_ISB_KSC_Lm4ESD_lEESH_SJ_Lm5ESD_lEEiiiii,comdat
	.globl	_ZN2at6native12_GLOBAL__N_131replication_pad_backward_kernelIN3c108BFloat16EEEvN5torch10headeronly6detail27GenericPackedTensorAccessorINS7_14TensorAccessorINS3_8ArrayRefIlEET_Lm4ENS6_16DefaultPtrTraitsElEENS_6detail16IndexBoundsCheckILm5ElEESC_Lm5ESD_lEENS8_INS9_ISB_KSC_Lm4ESD_lEESH_SJ_Lm5ESD_lEEiiiii ; -- Begin function _ZN2at6native12_GLOBAL__N_131replication_pad_backward_kernelIN3c108BFloat16EEEvN5torch10headeronly6detail27GenericPackedTensorAccessorINS7_14TensorAccessorINS3_8ArrayRefIlEET_Lm4ENS6_16DefaultPtrTraitsElEENS_6detail16IndexBoundsCheckILm5ElEESC_Lm5ESD_lEENS8_INS9_ISB_KSC_Lm4ESD_lEESH_SJ_Lm5ESD_lEEiiiii
	.p2align	8
	.type	_ZN2at6native12_GLOBAL__N_131replication_pad_backward_kernelIN3c108BFloat16EEEvN5torch10headeronly6detail27GenericPackedTensorAccessorINS7_14TensorAccessorINS3_8ArrayRefIlEET_Lm4ENS6_16DefaultPtrTraitsElEENS_6detail16IndexBoundsCheckILm5ElEESC_Lm5ESD_lEENS8_INS9_ISB_KSC_Lm4ESD_lEESH_SJ_Lm5ESD_lEEiiiii,@function
_ZN2at6native12_GLOBAL__N_131replication_pad_backward_kernelIN3c108BFloat16EEEvN5torch10headeronly6detail27GenericPackedTensorAccessorINS7_14TensorAccessorINS3_8ArrayRefIlEET_Lm4ENS6_16DefaultPtrTraitsElEENS_6detail16IndexBoundsCheckILm5ElEESC_Lm5ESD_lEENS8_INS9_ISB_KSC_Lm4ESD_lEESH_SJ_Lm5ESD_lEEiiiii: ; @_ZN2at6native12_GLOBAL__N_131replication_pad_backward_kernelIN3c108BFloat16EEEvN5torch10headeronly6detail27GenericPackedTensorAccessorINS7_14TensorAccessorINS3_8ArrayRefIlEET_Lm4ENS6_16DefaultPtrTraitsElEENS_6detail16IndexBoundsCheckILm5ElEESC_Lm5ESD_lEENS8_INS9_ISB_KSC_Lm4ESD_lEESH_SJ_Lm5ESD_lEEiiiii
; %bb.0:
	s_load_b32 s2, s[0:1], 0xd4
	s_bfe_u32 s4, ttmp6, 0x4000c
	s_and_b32 s10, ttmp6, 15
	s_add_co_i32 s11, s4, 1
	s_clause 0x1
	s_load_b128 s[4:7], s[0:1], 0x70
	s_load_b64 s[8:9], s[0:1], 0x80
	s_mul_i32 s11, ttmp9, s11
	s_getreg_b32 s3, hwreg(HW_REG_IB_STS2, 6, 4)
	s_add_co_i32 s10, s10, s11
	s_wait_kmcnt 0x0
	s_and_b32 s2, s2, 0xffff
	s_cmp_eq_u32 s3, 0
	s_cselect_b32 s10, ttmp9, s10
	s_delay_alu instid0(SALU_CYCLE_1) | instskip(SKIP_3) | instid1(VALU_DEP_1)
	v_mad_u32 v0, s10, s2, v0
	s_mul_u64 s[10:11], s[8:9], s[6:7]
	s_mov_b32 s2, exec_lo
	s_mul_u64 s[4:5], s[10:11], s[4:5]
	v_ashrrev_i32_e32 v1, 31, v0
	s_delay_alu instid0(VALU_DEP_1)
	v_cmpx_gt_i64_e64 s[4:5], v[0:1]
	s_cbranch_execz .LBB11_15
; %bb.1:
	v_dual_mov_b32 v6, 0 :: v_dual_bitop2_b32 v7, s9, v1 bitop3:0x54
	v_ashrrev_i32_e32 v2, 31, v1
                                        ; implicit-def: $vgpr4_vgpr5
	s_mov_b32 s2, exec_lo
	s_delay_alu instid0(VALU_DEP_2)
	v_cmpx_ne_u64_e32 0, v[6:7]
	s_xor_b32 s14, exec_lo, s2
	s_cbranch_execz .LBB11_3
; %bb.2:
	s_ashr_i32 s4, s9, 31
	s_mov_b32 s23, 0
	s_mov_b32 s5, s4
	v_dual_mov_b32 v3, v2 :: v_dual_mov_b32 v9, v6
	s_add_nc_u64 s[12:13], s[8:9], s[4:5]
	v_mov_b32_e32 v7, v6
	s_xor_b64 s[12:13], s[12:13], s[4:5]
	s_delay_alu instid0(VALU_DEP_2) | instskip(SKIP_4) | instid1(SALU_CYCLE_1)
	v_add_nc_u64_e32 v[4:5], v[0:1], v[2:3]
	s_cvt_f32_u32 s2, s12
	s_cvt_f32_u32 s5, s13
	s_sub_nc_u64 s[18:19], 0, s[12:13]
	v_dual_mov_b32 v11, v6 :: v_dual_mov_b32 v17, v6
	s_fmamk_f32 s2, s5, 0x4f800000, s2
	s_delay_alu instid0(VALU_DEP_2) | instskip(SKIP_1) | instid1(SALU_CYCLE_1)
	v_xor_b32_e32 v8, v4, v2
	v_xor_b32_e32 v10, v5, v2
	v_s_rcp_f32 s2, s2
	s_delay_alu instid0(TRANS32_DEP_1) | instskip(NEXT) | instid1(SALU_CYCLE_3)
	s_mul_f32 s2, s2, 0x5f7ffffc
	s_mul_f32 s5, s2, 0x2f800000
	s_delay_alu instid0(SALU_CYCLE_3) | instskip(NEXT) | instid1(SALU_CYCLE_3)
	s_trunc_f32 s5, s5
	s_fmamk_f32 s2, s5, 0xcf800000, s2
	s_cvt_u32_f32 s17, s5
	s_delay_alu instid0(SALU_CYCLE_2) | instskip(NEXT) | instid1(SALU_CYCLE_3)
	s_cvt_u32_f32 s16, s2
	s_mul_u64 s[20:21], s[18:19], s[16:17]
	s_delay_alu instid0(SALU_CYCLE_1)
	s_mul_hi_u32 s25, s16, s21
	s_mul_i32 s24, s16, s21
	s_mul_hi_u32 s22, s16, s20
	s_mul_i32 s5, s17, s20
	s_add_nc_u64 s[24:25], s[22:23], s[24:25]
	s_mul_hi_u32 s2, s17, s20
	s_mul_hi_u32 s15, s17, s21
	s_add_co_u32 s5, s24, s5
	s_add_co_ci_u32 s22, s25, s2
	s_mul_i32 s20, s17, s21
	s_add_co_ci_u32 s21, s15, 0
	s_delay_alu instid0(SALU_CYCLE_1) | instskip(NEXT) | instid1(SALU_CYCLE_1)
	s_add_nc_u64 s[20:21], s[22:23], s[20:21]
	s_add_co_u32 s16, s16, s20
	s_cselect_b32 s2, -1, 0
	s_delay_alu instid0(SALU_CYCLE_1) | instskip(SKIP_1) | instid1(SALU_CYCLE_1)
	s_cmp_lg_u32 s2, 0
	s_add_co_ci_u32 s17, s17, s21
	s_mul_u64 s[18:19], s[18:19], s[16:17]
	s_delay_alu instid0(SALU_CYCLE_1)
	s_mul_hi_u32 s21, s16, s19
	s_mul_i32 s20, s16, s19
	s_mul_hi_u32 s22, s16, s18
	s_mul_i32 s5, s17, s18
	s_add_nc_u64 s[20:21], s[22:23], s[20:21]
	s_mul_hi_u32 s2, s17, s18
	s_mul_hi_u32 s15, s17, s19
	s_add_co_u32 s5, s20, s5
	s_add_co_ci_u32 s22, s21, s2
	s_mul_i32 s18, s17, s19
	s_add_co_ci_u32 s19, s15, 0
	s_delay_alu instid0(SALU_CYCLE_1) | instskip(NEXT) | instid1(SALU_CYCLE_1)
	s_add_nc_u64 s[18:19], s[22:23], s[18:19]
	s_add_co_u32 s2, s16, s18
	s_cselect_b32 s5, -1, 0
	v_nop
	v_mul_hi_u32 v16, v8, s2
	s_cmp_lg_u32 s5, 0
	s_add_co_ci_u32 s22, s17, s19
	s_mov_b64 s[16:17], 0xffffffff
	v_mul_u64_e32 v[12:13], s[22:23], v[8:9]
	s_and_b64 s[16:17], s[2:3], s[16:17]
	v_mul_u64_e32 v[14:15], s[22:23], v[10:11]
	v_mul_u64_e32 v[4:5], s[16:17], v[10:11]
	s_delay_alu instid0(VALU_DEP_3) | instskip(NEXT) | instid1(VALU_DEP_1)
	v_add_nc_u64_e32 v[12:13], v[16:17], v[12:13]
	v_add_co_u32 v3, vcc_lo, v12, v4
	s_delay_alu instid0(VALU_DEP_2) | instskip(SKIP_1) | instid1(VALU_DEP_1)
	v_add_co_ci_u32_e32 v6, vcc_lo, v13, v5, vcc_lo
	v_add_co_ci_u32_e32 v15, vcc_lo, 0, v15, vcc_lo
	v_add_nc_u64_e32 v[4:5], v[6:7], v[14:15]
	s_delay_alu instid0(VALU_DEP_1) | instskip(NEXT) | instid1(VALU_DEP_1)
	v_mul_u64_e32 v[6:7], s[12:13], v[4:5]
	v_sub_nc_u32_e32 v3, v10, v7
	s_delay_alu instid0(VALU_DEP_2) | instskip(NEXT) | instid1(VALU_DEP_1)
	v_sub_co_u32 v6, vcc_lo, v8, v6
	v_sub_co_ci_u32_e64 v10, null, v10, v7, vcc_lo
	s_delay_alu instid0(VALU_DEP_3) | instskip(NEXT) | instid1(VALU_DEP_3)
	v_subrev_co_ci_u32_e64 v3, null, s13, v3, vcc_lo
	v_sub_co_u32 v8, s2, v6, s12
	s_delay_alu instid0(VALU_DEP_1) | instskip(NEXT) | instid1(VALU_DEP_2)
	v_subrev_co_ci_u32_e64 v3, null, 0, v3, s2
	v_cmp_le_u32_e32 vcc_lo, s12, v8
	v_cndmask_b32_e64 v7, 0, -1, vcc_lo
	s_delay_alu instid0(VALU_DEP_3)
	v_cmp_le_u32_e32 vcc_lo, s13, v3
	v_cndmask_b32_e64 v8, 0, -1, vcc_lo
	v_cmp_le_u32_e32 vcc_lo, s12, v6
	v_cndmask_b32_e64 v11, 0, -1, vcc_lo
	;; [unrolled: 2-line block ×3, first 2 shown]
	v_cmp_eq_u32_e32 vcc_lo, s13, v3
	v_cndmask_b32_e32 v3, v8, v7, vcc_lo
	v_cmp_eq_u32_e32 vcc_lo, s13, v10
	v_add_nc_u64_e32 v[6:7], 2, v[4:5]
	v_add_nc_u64_e32 v[8:9], 1, v[4:5]
	v_cndmask_b32_e32 v10, v12, v11, vcc_lo
	v_cmp_ne_u32_e32 vcc_lo, 0, v3
	s_delay_alu instid0(VALU_DEP_2) | instskip(NEXT) | instid1(VALU_DEP_4)
	v_cmp_ne_u32_e64 s2, 0, v10
	v_dual_cndmask_b32 v3, v9, v7, vcc_lo :: v_dual_cndmask_b32 v7, v8, v6, vcc_lo
	s_delay_alu instid0(VALU_DEP_1) | instskip(NEXT) | instid1(VALU_DEP_1)
	v_dual_cndmask_b32 v4, v4, v7, s2 :: v_dual_bitop2_b32 v6, s4, v2 bitop3:0x14
	v_dual_cndmask_b32 v3, v5, v3, s2 :: v_dual_mov_b32 v7, v6
	s_delay_alu instid0(VALU_DEP_2) | instskip(NEXT) | instid1(VALU_DEP_2)
	v_xor_b32_e32 v4, v4, v6
	v_xor_b32_e32 v5, v3, v6
	s_delay_alu instid0(VALU_DEP_1)
	v_sub_nc_u64_e32 v[4:5], v[4:5], v[6:7]
.LBB11_3:
	s_and_not1_saveexec_b32 s2, s14
	s_cbranch_execz .LBB11_5
; %bb.4:
	v_cvt_f32_u32_e32 v3, s8
	s_sub_co_i32 s4, 0, s8
	s_delay_alu instid0(VALU_DEP_1) | instskip(SKIP_1) | instid1(TRANS32_DEP_1)
	v_rcp_iflag_f32_e32 v3, v3
	v_nop
	v_mul_f32_e32 v3, 0x4f7ffffe, v3
	s_delay_alu instid0(VALU_DEP_1) | instskip(NEXT) | instid1(VALU_DEP_1)
	v_cvt_u32_f32_e32 v3, v3
	v_mul_lo_u32 v4, s4, v3
	s_delay_alu instid0(VALU_DEP_1) | instskip(NEXT) | instid1(VALU_DEP_1)
	v_mul_hi_u32 v4, v3, v4
	v_add_nc_u32_e32 v3, v3, v4
	s_delay_alu instid0(VALU_DEP_1) | instskip(NEXT) | instid1(VALU_DEP_1)
	v_mul_hi_u32 v3, v0, v3
	v_mul_lo_u32 v4, v3, s8
	s_delay_alu instid0(VALU_DEP_1) | instskip(NEXT) | instid1(VALU_DEP_1)
	v_dual_add_nc_u32 v5, 1, v3 :: v_dual_sub_nc_u32 v4, v0, v4
	v_subrev_nc_u32_e32 v6, s8, v4
	v_cmp_le_u32_e32 vcc_lo, s8, v4
	s_delay_alu instid0(VALU_DEP_2) | instskip(NEXT) | instid1(VALU_DEP_1)
	v_dual_cndmask_b32 v4, v4, v6 :: v_dual_cndmask_b32 v3, v3, v5
	v_cmp_le_u32_e32 vcc_lo, s8, v4
	s_delay_alu instid0(VALU_DEP_2) | instskip(NEXT) | instid1(VALU_DEP_1)
	v_add_nc_u32_e32 v5, 1, v3
	v_dual_cndmask_b32 v4, v3, v5 :: v_dual_mov_b32 v5, 0
.LBB11_5:
	s_or_b32 exec_lo, exec_lo, s2
	s_delay_alu instid0(VALU_DEP_1) | instskip(SKIP_1) | instid1(VALU_DEP_1)
	v_dual_mov_b32 v8, 0 :: v_dual_bitop2_b32 v9, s7, v5 bitop3:0x54
                                        ; implicit-def: $vgpr6_vgpr7
	s_mov_b32 s2, exec_lo
	v_cmpx_ne_u64_e32 0, v[8:9]
	s_xor_b32 s12, exec_lo, s2
	s_cbranch_execz .LBB11_7
; %bb.6:
	s_ashr_i32 s4, s7, 31
	s_mov_b32 s21, 0
	s_mov_b32 s5, s4
	v_dual_mov_b32 v13, v8 :: v_dual_ashrrev_i32 v6, 31, v5
	s_add_nc_u64 s[14:15], s[6:7], s[4:5]
	v_mov_b32_e32 v15, v8
	s_xor_b64 s[4:5], s[14:15], s[4:5]
	s_delay_alu instid0(VALU_DEP_2)
	v_mov_b32_e32 v7, v6
	s_cvt_f32_u32 s2, s4
	s_cvt_f32_u32 s7, s5
	s_sub_nc_u64 s[16:17], 0, s[4:5]
	v_mov_b32_e32 v21, v8
	v_add_nc_u64_e32 v[10:11], v[4:5], v[6:7]
	s_fmamk_f32 s2, s7, 0x4f800000, s2
	v_mov_b32_e32 v9, v8
	s_delay_alu instid0(SALU_CYCLE_2) | instskip(NEXT) | instid1(VALU_DEP_2)
	v_s_rcp_f32 s2, s2
	v_xor_b32_e32 v12, v10, v6
	s_delay_alu instid0(VALU_DEP_3) | instskip(NEXT) | instid1(TRANS32_DEP_1)
	v_xor_b32_e32 v14, v11, v6
	s_mul_f32 s2, s2, 0x5f7ffffc
	s_delay_alu instid0(SALU_CYCLE_3) | instskip(NEXT) | instid1(SALU_CYCLE_3)
	s_mul_f32 s7, s2, 0x2f800000
	s_trunc_f32 s7, s7
	s_delay_alu instid0(SALU_CYCLE_3) | instskip(SKIP_1) | instid1(SALU_CYCLE_2)
	s_fmamk_f32 s2, s7, 0xcf800000, s2
	s_cvt_u32_f32 s15, s7
	s_cvt_u32_f32 s14, s2
	s_delay_alu instid0(SALU_CYCLE_3) | instskip(NEXT) | instid1(SALU_CYCLE_1)
	s_mul_u64 s[18:19], s[16:17], s[14:15]
	s_mul_hi_u32 s23, s14, s19
	s_mul_i32 s22, s14, s19
	s_mul_hi_u32 s20, s14, s18
	s_mul_i32 s7, s15, s18
	s_add_nc_u64 s[22:23], s[20:21], s[22:23]
	s_mul_hi_u32 s2, s15, s18
	s_mul_hi_u32 s13, s15, s19
	s_add_co_u32 s7, s22, s7
	s_add_co_ci_u32 s20, s23, s2
	s_mul_i32 s18, s15, s19
	s_add_co_ci_u32 s19, s13, 0
	s_delay_alu instid0(SALU_CYCLE_1) | instskip(NEXT) | instid1(SALU_CYCLE_1)
	s_add_nc_u64 s[18:19], s[20:21], s[18:19]
	s_add_co_u32 s14, s14, s18
	s_cselect_b32 s2, -1, 0
	s_delay_alu instid0(SALU_CYCLE_1) | instskip(SKIP_1) | instid1(SALU_CYCLE_1)
	s_cmp_lg_u32 s2, 0
	s_add_co_ci_u32 s15, s15, s19
	s_mul_u64 s[16:17], s[16:17], s[14:15]
	s_delay_alu instid0(SALU_CYCLE_1)
	s_mul_hi_u32 s19, s14, s17
	s_mul_i32 s18, s14, s17
	s_mul_hi_u32 s20, s14, s16
	s_mul_i32 s7, s15, s16
	s_add_nc_u64 s[18:19], s[20:21], s[18:19]
	s_mul_hi_u32 s2, s15, s16
	s_mul_hi_u32 s13, s15, s17
	s_add_co_u32 s7, s18, s7
	s_add_co_ci_u32 s20, s19, s2
	s_mul_i32 s16, s15, s17
	s_add_co_ci_u32 s17, s13, 0
	s_delay_alu instid0(SALU_CYCLE_1) | instskip(NEXT) | instid1(SALU_CYCLE_1)
	s_add_nc_u64 s[16:17], s[20:21], s[16:17]
	s_add_co_u32 s2, s14, s16
	s_cselect_b32 s7, -1, 0
	v_mul_hi_u32 v20, v12, s2
	s_cmp_lg_u32 s7, 0
	s_add_co_ci_u32 s20, s15, s17
	s_mov_b64 s[14:15], 0xffffffff
	v_mul_u64_e32 v[16:17], s[20:21], v[12:13]
	s_and_b64 s[14:15], s[2:3], s[14:15]
	v_mul_u64_e32 v[18:19], s[20:21], v[14:15]
	v_mul_u64_e32 v[10:11], s[14:15], v[14:15]
	s_delay_alu instid0(VALU_DEP_3) | instskip(NEXT) | instid1(VALU_DEP_1)
	v_add_nc_u64_e32 v[16:17], v[20:21], v[16:17]
	v_add_co_u32 v3, vcc_lo, v16, v10
	s_delay_alu instid0(VALU_DEP_2) | instskip(SKIP_1) | instid1(VALU_DEP_1)
	v_add_co_ci_u32_e32 v8, vcc_lo, v17, v11, vcc_lo
	v_add_co_ci_u32_e32 v19, vcc_lo, 0, v19, vcc_lo
	v_add_nc_u64_e32 v[8:9], v[8:9], v[18:19]
	s_delay_alu instid0(VALU_DEP_1) | instskip(NEXT) | instid1(VALU_DEP_1)
	v_mul_u64_e32 v[8:9], s[4:5], v[8:9]
	v_sub_co_u32 v8, vcc_lo, v12, v8
	s_delay_alu instid0(VALU_DEP_1) | instskip(NEXT) | instid1(VALU_DEP_1)
	v_cmp_le_u32_e64 s2, s4, v8
	v_cndmask_b32_e64 v12, 0, -1, s2
	s_delay_alu instid0(VALU_DEP_4) | instskip(SKIP_1) | instid1(VALU_DEP_2)
	v_sub_nc_u32_e32 v3, v14, v9
	v_sub_co_ci_u32_e64 v9, null, v14, v9, vcc_lo
	v_subrev_co_ci_u32_e64 v3, null, s5, v3, vcc_lo
	v_sub_co_u32 v10, vcc_lo, v8, s4
	s_delay_alu instid0(VALU_DEP_1) | instskip(NEXT) | instid1(VALU_DEP_2)
	v_subrev_co_ci_u32_e64 v11, null, 0, v3, vcc_lo
	v_cmp_le_u32_e64 s2, s4, v10
	v_subrev_co_ci_u32_e64 v3, null, s5, v3, vcc_lo
	v_cmp_le_u32_e32 vcc_lo, s5, v9
	s_delay_alu instid0(VALU_DEP_3) | instskip(SKIP_3) | instid1(VALU_DEP_3)
	v_cndmask_b32_e64 v13, 0, -1, s2
	v_cmp_le_u32_e64 s2, s5, v11
	v_cndmask_b32_e64 v15, 0, -1, vcc_lo
	v_cmp_eq_u32_e32 vcc_lo, s5, v11
	v_cndmask_b32_e64 v14, 0, -1, s2
	v_cmp_eq_u32_e64 s2, s5, v9
	s_delay_alu instid0(VALU_DEP_2) | instskip(SKIP_1) | instid1(VALU_DEP_1)
	v_cndmask_b32_e32 v13, v14, v13, vcc_lo
	v_sub_co_u32 v14, vcc_lo, v10, s4
	v_subrev_co_ci_u32_e64 v3, null, 0, v3, vcc_lo
	s_delay_alu instid0(VALU_DEP_3) | instskip(SKIP_1) | instid1(VALU_DEP_3)
	v_cmp_ne_u32_e32 vcc_lo, 0, v13
	v_cndmask_b32_e64 v12, v15, v12, s2
	v_dual_cndmask_b32 v3, v11, v3 :: v_dual_cndmask_b32 v10, v10, v14
	s_delay_alu instid0(VALU_DEP_2) | instskip(NEXT) | instid1(VALU_DEP_2)
	v_cmp_ne_u32_e32 vcc_lo, 0, v12
	v_dual_cndmask_b32 v3, v9, v3 :: v_dual_cndmask_b32 v8, v8, v10
	s_delay_alu instid0(VALU_DEP_1) | instskip(NEXT) | instid1(VALU_DEP_2)
	v_xor_b32_e32 v9, v3, v6
	v_xor_b32_e32 v8, v8, v6
	s_delay_alu instid0(VALU_DEP_1)
	v_sub_nc_u64_e32 v[6:7], v[8:9], v[6:7]
.LBB11_7:
	s_and_not1_saveexec_b32 s2, s12
	s_cbranch_execz .LBB11_9
; %bb.8:
	v_cvt_f32_u32_e32 v3, s6
	s_sub_co_i32 s4, 0, s6
	s_delay_alu instid0(VALU_DEP_1) | instskip(SKIP_1) | instid1(TRANS32_DEP_1)
	v_rcp_iflag_f32_e32 v3, v3
	v_nop
	v_mul_f32_e32 v3, 0x4f7ffffe, v3
	s_delay_alu instid0(VALU_DEP_1) | instskip(NEXT) | instid1(VALU_DEP_1)
	v_cvt_u32_f32_e32 v3, v3
	v_mul_lo_u32 v6, s4, v3
	s_delay_alu instid0(VALU_DEP_1) | instskip(NEXT) | instid1(VALU_DEP_1)
	v_mul_hi_u32 v6, v3, v6
	v_add_nc_u32_e32 v3, v3, v6
	s_delay_alu instid0(VALU_DEP_1) | instskip(NEXT) | instid1(VALU_DEP_1)
	v_mul_hi_u32 v3, v4, v3
	v_mul_lo_u32 v3, v3, s6
	s_delay_alu instid0(VALU_DEP_1) | instskip(NEXT) | instid1(VALU_DEP_1)
	v_sub_nc_u32_e32 v3, v4, v3
	v_subrev_nc_u32_e32 v6, s6, v3
	v_cmp_le_u32_e32 vcc_lo, s6, v3
	s_delay_alu instid0(VALU_DEP_2) | instskip(NEXT) | instid1(VALU_DEP_1)
	v_cndmask_b32_e32 v3, v3, v6, vcc_lo
	v_subrev_nc_u32_e32 v6, s6, v3
	v_cmp_le_u32_e32 vcc_lo, s6, v3
	s_delay_alu instid0(VALU_DEP_2)
	v_cndmask_b32_e32 v6, v3, v6, vcc_lo
.LBB11_9:
	s_or_b32 exec_lo, exec_lo, s2
	v_dual_mov_b32 v10, 0 :: v_dual_bitop2_b32 v11, s11, v1 bitop3:0x54
                                        ; implicit-def: $vgpr8_vgpr9
	s_mov_b32 s2, exec_lo
	s_delay_alu instid0(VALU_DEP_1)
	v_cmpx_ne_u64_e32 0, v[10:11]
	s_xor_b32 s12, exec_lo, s2
	s_cbranch_execz .LBB11_11
; %bb.10:
	s_ashr_i32 s4, s11, 31
	s_mov_b32 s21, 0
	s_mov_b32 s5, s4
	v_dual_mov_b32 v3, v2 :: v_dual_mov_b32 v13, v10
	s_add_nc_u64 s[6:7], s[10:11], s[4:5]
	v_mov_b32_e32 v11, v10
	s_xor_b64 s[6:7], s[6:7], s[4:5]
	s_delay_alu instid0(VALU_DEP_2) | instskip(SKIP_4) | instid1(SALU_CYCLE_1)
	v_add_nc_u64_e32 v[8:9], v[0:1], v[2:3]
	s_cvt_f32_u32 s2, s6
	s_cvt_f32_u32 s5, s7
	s_sub_nc_u64 s[16:17], 0, s[6:7]
	v_dual_mov_b32 v15, v10 :: v_dual_mov_b32 v21, v10
	s_fmamk_f32 s2, s5, 0x4f800000, s2
	s_delay_alu instid0(VALU_DEP_2) | instskip(SKIP_3) | instid1(TRANS32_DEP_1)
	v_xor_b32_e32 v12, v8, v2
	v_xor_b32_e32 v14, v9, v2
	;; [unrolled: 1-line block ×3, first 2 shown]
	v_s_rcp_f32 s2, s2
	s_mul_f32 s2, s2, 0x5f7ffffc
	s_delay_alu instid0(SALU_CYCLE_3) | instskip(NEXT) | instid1(SALU_CYCLE_3)
	s_mul_f32 s5, s2, 0x2f800000
	s_trunc_f32 s5, s5
	s_delay_alu instid0(SALU_CYCLE_3) | instskip(SKIP_1) | instid1(SALU_CYCLE_2)
	s_fmamk_f32 s2, s5, 0xcf800000, s2
	s_cvt_u32_f32 s15, s5
	s_cvt_u32_f32 s14, s2
	s_delay_alu instid0(SALU_CYCLE_3) | instskip(NEXT) | instid1(SALU_CYCLE_1)
	s_mul_u64 s[18:19], s[16:17], s[14:15]
	s_mul_hi_u32 s23, s14, s19
	s_mul_i32 s22, s14, s19
	s_mul_hi_u32 s20, s14, s18
	s_mul_i32 s5, s15, s18
	s_add_nc_u64 s[22:23], s[20:21], s[22:23]
	s_mul_hi_u32 s2, s15, s18
	s_mul_hi_u32 s11, s15, s19
	s_add_co_u32 s5, s22, s5
	s_add_co_ci_u32 s20, s23, s2
	s_mul_i32 s18, s15, s19
	s_add_co_ci_u32 s19, s11, 0
	s_delay_alu instid0(SALU_CYCLE_1) | instskip(NEXT) | instid1(SALU_CYCLE_1)
	s_add_nc_u64 s[18:19], s[20:21], s[18:19]
	s_add_co_u32 s14, s14, s18
	s_cselect_b32 s2, -1, 0
	s_delay_alu instid0(SALU_CYCLE_1) | instskip(SKIP_1) | instid1(SALU_CYCLE_1)
	s_cmp_lg_u32 s2, 0
	s_add_co_ci_u32 s15, s15, s19
	s_mul_u64 s[16:17], s[16:17], s[14:15]
	s_delay_alu instid0(SALU_CYCLE_1)
	s_mul_hi_u32 s19, s14, s17
	s_mul_i32 s18, s14, s17
	s_mul_hi_u32 s20, s14, s16
	s_mul_i32 s5, s15, s16
	s_add_nc_u64 s[18:19], s[20:21], s[18:19]
	s_mul_hi_u32 s2, s15, s16
	s_mul_hi_u32 s11, s15, s17
	s_add_co_u32 s5, s18, s5
	s_add_co_ci_u32 s20, s19, s2
	s_mul_i32 s16, s15, s17
	s_add_co_ci_u32 s17, s11, 0
	s_delay_alu instid0(SALU_CYCLE_1) | instskip(NEXT) | instid1(SALU_CYCLE_1)
	s_add_nc_u64 s[16:17], s[20:21], s[16:17]
	s_add_co_u32 s2, s14, s16
	s_cselect_b32 s5, -1, 0
	v_nop
	v_mul_hi_u32 v20, v12, s2
	s_cmp_lg_u32 s5, 0
	s_add_co_ci_u32 s20, s15, s17
	s_mov_b64 s[14:15], 0xffffffff
	v_mul_u64_e32 v[16:17], s[20:21], v[12:13]
	s_and_b64 s[14:15], s[2:3], s[14:15]
	v_mul_u64_e32 v[18:19], s[20:21], v[14:15]
	v_mul_u64_e32 v[8:9], s[14:15], v[14:15]
	s_delay_alu instid0(VALU_DEP_3) | instskip(NEXT) | instid1(VALU_DEP_1)
	v_add_nc_u64_e32 v[16:17], v[20:21], v[16:17]
	v_add_co_u32 v3, vcc_lo, v16, v8
	s_delay_alu instid0(VALU_DEP_2) | instskip(SKIP_1) | instid1(VALU_DEP_1)
	v_add_co_ci_u32_e32 v10, vcc_lo, v17, v9, vcc_lo
	v_add_co_ci_u32_e32 v19, vcc_lo, 0, v19, vcc_lo
	v_add_nc_u64_e32 v[8:9], v[10:11], v[18:19]
	s_delay_alu instid0(VALU_DEP_1) | instskip(NEXT) | instid1(VALU_DEP_1)
	v_mul_u64_e32 v[10:11], s[6:7], v[8:9]
	v_sub_co_u32 v7, vcc_lo, v12, v10
	v_add_nc_u64_e32 v[12:13], 1, v[8:9]
	s_delay_alu instid0(VALU_DEP_3) | instskip(SKIP_1) | instid1(VALU_DEP_4)
	v_sub_nc_u32_e32 v3, v14, v11
	v_sub_co_ci_u32_e64 v14, null, v14, v11, vcc_lo
	v_sub_co_u32 v10, s2, v7, s6
	s_delay_alu instid0(VALU_DEP_3) | instskip(NEXT) | instid1(VALU_DEP_2)
	v_subrev_co_ci_u32_e64 v3, null, s7, v3, vcc_lo
	v_cmp_le_u32_e32 vcc_lo, s6, v10
	s_delay_alu instid0(VALU_DEP_2) | instskip(SKIP_1) | instid1(VALU_DEP_2)
	v_subrev_co_ci_u32_e64 v3, null, 0, v3, s2
	v_cndmask_b32_e64 v10, 0, -1, vcc_lo
	v_cmp_le_u32_e32 vcc_lo, s7, v3
	v_cndmask_b32_e64 v11, 0, -1, vcc_lo
	v_cmp_le_u32_e32 vcc_lo, s6, v7
	v_cndmask_b32_e64 v7, 0, -1, vcc_lo
	v_cmp_le_u32_e32 vcc_lo, s7, v14
	v_cndmask_b32_e64 v15, 0, -1, vcc_lo
	v_cmp_eq_u32_e32 vcc_lo, s7, v3
	v_cndmask_b32_e32 v3, v11, v10, vcc_lo
	v_cmp_eq_u32_e32 vcc_lo, s7, v14
	v_add_nc_u64_e32 v[10:11], 2, v[8:9]
	v_cndmask_b32_e32 v7, v15, v7, vcc_lo
	s_delay_alu instid0(VALU_DEP_4) | instskip(NEXT) | instid1(VALU_DEP_2)
	v_cmp_ne_u32_e32 vcc_lo, 0, v3
	v_cmp_ne_u32_e64 s2, 0, v7
	s_delay_alu instid0(VALU_DEP_4) | instskip(NEXT) | instid1(VALU_DEP_1)
	v_dual_cndmask_b32 v3, v13, v11, vcc_lo :: v_dual_cndmask_b32 v7, v12, v10, vcc_lo
	v_dual_cndmask_b32 v9, v9, v3, s2 :: v_dual_mov_b32 v3, v2
	s_delay_alu instid0(VALU_DEP_1) | instskip(NEXT) | instid1(VALU_DEP_1)
	v_dual_cndmask_b32 v7, v8, v7, s2 :: v_dual_bitop2_b32 v9, v9, v2 bitop3:0x14
	v_xor_b32_e32 v8, v7, v2
	s_delay_alu instid0(VALU_DEP_1)
	v_sub_nc_u64_e32 v[8:9], v[8:9], v[2:3]
.LBB11_11:
	s_and_not1_saveexec_b32 s2, s12
	s_cbranch_execz .LBB11_13
; %bb.12:
	v_cvt_f32_u32_e32 v2, s10
	s_sub_co_i32 s4, 0, s10
	s_delay_alu instid0(VALU_DEP_1) | instskip(SKIP_1) | instid1(TRANS32_DEP_1)
	v_rcp_iflag_f32_e32 v2, v2
	v_nop
	v_mul_f32_e32 v2, 0x4f7ffffe, v2
	s_delay_alu instid0(VALU_DEP_1) | instskip(NEXT) | instid1(VALU_DEP_1)
	v_cvt_u32_f32_e32 v2, v2
	v_mul_lo_u32 v3, s4, v2
	s_delay_alu instid0(VALU_DEP_1) | instskip(NEXT) | instid1(VALU_DEP_1)
	v_mul_hi_u32 v3, v2, v3
	v_add_nc_u32_e32 v2, v2, v3
	s_delay_alu instid0(VALU_DEP_1) | instskip(NEXT) | instid1(VALU_DEP_1)
	v_mul_hi_u32 v2, v0, v2
	v_mul_lo_u32 v3, v2, s10
	s_delay_alu instid0(VALU_DEP_1) | instskip(NEXT) | instid1(VALU_DEP_1)
	v_dual_add_nc_u32 v7, 1, v2 :: v_dual_sub_nc_u32 v3, v0, v3
	v_subrev_nc_u32_e32 v8, s10, v3
	v_cmp_le_u32_e32 vcc_lo, s10, v3
	s_delay_alu instid0(VALU_DEP_2) | instskip(NEXT) | instid1(VALU_DEP_1)
	v_dual_cndmask_b32 v3, v3, v8 :: v_dual_cndmask_b32 v2, v2, v7
	v_cmp_le_u32_e32 vcc_lo, s10, v3
	s_delay_alu instid0(VALU_DEP_2) | instskip(NEXT) | instid1(VALU_DEP_1)
	v_add_nc_u32_e32 v7, 1, v2
	v_cndmask_b32_e32 v8, v2, v7, vcc_lo
.LBB11_13:
	s_or_b32 exec_lo, exec_lo, s2
	v_mul_u64_e32 v[2:3], s[8:9], v[4:5]
	s_clause 0x1
	s_load_b128 s[28:31], s[0:1], 0xb0
	s_load_b512 s[4:19], s[0:1], 0x18
	s_bfe_u32 s2, ttmp6, 0x40014
	s_wait_kmcnt 0x0
	s_bfe_u32 s7, ttmp6, 0x40010
	s_lshr_b32 s20, ttmp7, 16
	s_and_b32 s5, ttmp7, 0xffff
	s_add_co_i32 s2, s2, 1
	s_add_co_i32 s7, s7, 1
	s_bfe_u32 s21, ttmp6, 0x40008
	s_bfe_u32 s9, ttmp6, 0x40004
	s_mul_i32 s2, s20, s2
	s_mul_i32 s7, s5, s7
	s_add_co_i32 s21, s21, s2
	s_add_co_i32 s9, s9, s7
	s_cmp_eq_u32 s3, 0
	s_load_b64 s[2:3], s[0:1], 0xa8
	s_cselect_b32 s7, s5, s9
	s_cselect_b32 s9, s20, s21
	v_dual_ashrrev_i32 v9, 31, v8 :: v_dual_ashrrev_i32 v7, 31, v6
	s_sub_co_i32 s21, 0, s28
	s_add_co_i32 s4, s28, s4
	s_add_co_i32 s6, s29, s6
	s_add_co_i32 s4, s4, -1
	s_max_i32 s23, s28, 0
	s_max_i32 s21, s21, 0
	s_add_co_i32 s6, s6, -1
	s_sub_co_i32 s20, 0, s29
	s_sub_co_i32 s5, 0, s30
	s_max_i32 s22, s29, 0
	s_max_i32 s20, s20, 0
	v_sub_nc_u64_e32 v[0:1], v[0:1], v[2:3]
	v_maxmin_i32 v2, s28, v8, s4
	v_maxmin_i32 v3, s29, v6, s6
	s_sub_co_i32 s6, s21, s23
	s_add_co_i32 s4, s30, s8
	s_max_i32 s33, s30, 0
	v_add_nc_u32_e32 v2, s6, v2
	s_max_i32 s5, s5, 0
	s_add_co_i32 s4, s4, -1
	s_sub_co_i32 s6, s20, s22
	v_maxmin_i32 v5, s30, v0, s4
	v_add_nc_u32_e32 v4, s6, v3
	s_load_b256 s[20:27], s[0:1], 0x88
	s_sub_co_i32 s4, s5, s33
	s_delay_alu instid0(VALU_DEP_2) | instid1(SALU_CYCLE_1)
	v_dual_ashrrev_i32 v3, 31, v2 :: v_dual_add_nc_u32 v10, s4, v5
	s_load_b32 s6, s[0:1], 0xc0
	v_ashrrev_i32_e32 v5, 31, v4
	s_load_b64 s[4:5], s[0:1], 0x0
	s_delay_alu instid0(VALU_DEP_2)
	v_mul_u64_e32 v[2:3], s[14:15], v[2:3]
	v_ashrrev_i32_e32 v11, 31, v10
	s_add_co_i32 s8, s31, s7
	v_mul_u64_e32 v[4:5], s[16:17], v[4:5]
	s_wait_xcnt 0x0
	s_load_b64 s[0:1], s[0:1], 0x58
	s_wait_kmcnt 0x0
	v_mul_u64_e32 v[0:1], s[2:3], v[0:1]
	v_mul_u64_e32 v[10:11], s[18:19], v[10:11]
	;; [unrolled: 1-line block ×4, first 2 shown]
	s_add_co_i32 s6, s6, s9
	s_ashr_i32 s9, s8, 31
	s_ashr_i32 s7, s6, 31
	s_mul_u64 s[12:13], s[12:13], s[8:9]
	s_mul_u64 s[10:11], s[10:11], s[6:7]
	s_delay_alu instid0(SALU_CYCLE_1)
	s_lshl_b64 s[2:3], s[10:11], 1
	s_lshl_b64 s[10:11], s[12:13], 1
	s_add_nc_u64 s[2:3], s[4:5], s[2:3]
	s_mul_u64 s[4:5], s[22:23], s[8:9]
	s_add_nc_u64 s[2:3], s[2:3], s[10:11]
	s_lshl_b64 s[4:5], s[4:5], 1
	v_lshl_add_u64 v[2:3], v[2:3], 1, s[2:3]
	s_mul_u64 s[2:3], s[20:21], s[6:7]
	s_delay_alu instid0(SALU_CYCLE_1) | instskip(NEXT) | instid1(VALU_DEP_1)
	s_lshl_b64 s[2:3], s[2:3], 1
	v_lshl_add_u64 v[2:3], v[4:5], 1, v[2:3]
	s_add_nc_u64 s[0:1], s[0:1], s[2:3]
	s_delay_alu instid0(SALU_CYCLE_1) | instskip(NEXT) | instid1(VALU_DEP_1)
	s_add_nc_u64 s[0:1], s[0:1], s[4:5]
	v_lshl_add_u64 v[2:3], v[10:11], 1, v[2:3]
	v_lshl_add_u64 v[4:5], v[8:9], 1, s[0:1]
	s_delay_alu instid0(VALU_DEP_2) | instskip(SKIP_1) | instid1(VALU_DEP_2)
	v_dual_mov_b32 v9, 0 :: v_dual_bitop2_b32 v8, 2, v2 bitop3:0x40
	s_mov_b32 s1, 0
	v_lshl_add_u64 v[4:5], v[6:7], 1, v[4:5]
	s_delay_alu instid0(VALU_DEP_2) | instskip(SKIP_1) | instid1(VALU_DEP_3)
	v_sub_nc_u64_e32 v[6:7], 0, v[8:9]
	v_cmp_eq_u64_e32 vcc_lo, 0, v[8:9]
	v_lshl_add_u64 v[4:5], v[0:1], 1, v[4:5]
	s_delay_alu instid0(VALU_DEP_3)
	v_add_nc_u64_e32 v[0:1], v[2:3], v[6:7]
	global_load_u16 v2, v[4:5], off
	global_load_b32 v3, v[0:1], off
	s_wait_loadcnt 0x1
	s_wait_xcnt 0x1
	v_lshlrev_b32_e32 v4, 16, v2
.LBB11_14:                              ; =>This Inner Loop Header: Depth=1
	s_wait_loadcnt 0x0
	v_lshrrev_b32_e32 v2, 16, v3
	v_and_b32_e32 v5, 0xffff, v3
	s_delay_alu instid0(VALU_DEP_1) | instskip(NEXT) | instid1(VALU_DEP_1)
	v_cndmask_b32_e32 v2, v2, v5, vcc_lo
	v_lshlrev_b32_e32 v2, 16, v2
	s_delay_alu instid0(VALU_DEP_1) | instskip(NEXT) | instid1(VALU_DEP_1)
	v_add_f32_e32 v2, v4, v2
	v_bfe_u32 v6, v2, 16, 1
	v_cmp_o_f32_e64 s0, v2, v2
	s_delay_alu instid0(VALU_DEP_2) | instskip(NEXT) | instid1(VALU_DEP_1)
	v_add3_u32 v6, v2, v6, 0x7fff
	v_lshrrev_b32_e32 v6, 16, v6
	s_delay_alu instid0(VALU_DEP_1) | instskip(NEXT) | instid1(VALU_DEP_1)
	v_cndmask_b32_e64 v2, 0x7fc0, v6, s0
	v_lshl_or_b32 v5, v2, 16, v5
	v_and_or_b32 v2, 0xffff0000, v3, v2
	s_delay_alu instid0(VALU_DEP_1)
	v_cndmask_b32_e32 v2, v5, v2, vcc_lo
	global_atomic_cmpswap_b32 v2, v[0:1], v[2:3], off th:TH_ATOMIC_RETURN scope:SCOPE_DEV
	s_wait_loadcnt 0x0
	v_cmp_eq_u32_e64 s0, v3, v2
	v_mov_b32_e32 v3, v2
	s_or_b32 s1, s0, s1
	s_delay_alu instid0(SALU_CYCLE_1)
	s_and_not1_b32 exec_lo, exec_lo, s1
	s_cbranch_execnz .LBB11_14
.LBB11_15:
	s_endpgm
	.section	.rodata,"a",@progbits
	.p2align	6, 0x0
	.amdhsa_kernel _ZN2at6native12_GLOBAL__N_131replication_pad_backward_kernelIN3c108BFloat16EEEvN5torch10headeronly6detail27GenericPackedTensorAccessorINS7_14TensorAccessorINS3_8ArrayRefIlEET_Lm4ENS6_16DefaultPtrTraitsElEENS_6detail16IndexBoundsCheckILm5ElEESC_Lm5ESD_lEENS8_INS9_ISB_KSC_Lm4ESD_lEESH_SJ_Lm5ESD_lEEiiiii
		.amdhsa_group_segment_fixed_size 0
		.amdhsa_private_segment_fixed_size 0
		.amdhsa_kernarg_size 456
		.amdhsa_user_sgpr_count 2
		.amdhsa_user_sgpr_dispatch_ptr 0
		.amdhsa_user_sgpr_queue_ptr 0
		.amdhsa_user_sgpr_kernarg_segment_ptr 1
		.amdhsa_user_sgpr_dispatch_id 0
		.amdhsa_user_sgpr_kernarg_preload_length 0
		.amdhsa_user_sgpr_kernarg_preload_offset 0
		.amdhsa_user_sgpr_private_segment_size 0
		.amdhsa_wavefront_size32 1
		.amdhsa_uses_dynamic_stack 0
		.amdhsa_enable_private_segment 0
		.amdhsa_system_sgpr_workgroup_id_x 1
		.amdhsa_system_sgpr_workgroup_id_y 1
		.amdhsa_system_sgpr_workgroup_id_z 1
		.amdhsa_system_sgpr_workgroup_info 0
		.amdhsa_system_vgpr_workitem_id 0
		.amdhsa_next_free_vgpr 22
		.amdhsa_next_free_sgpr 34
		.amdhsa_named_barrier_count 0
		.amdhsa_reserve_vcc 1
		.amdhsa_float_round_mode_32 0
		.amdhsa_float_round_mode_16_64 0
		.amdhsa_float_denorm_mode_32 3
		.amdhsa_float_denorm_mode_16_64 3
		.amdhsa_fp16_overflow 0
		.amdhsa_memory_ordered 1
		.amdhsa_forward_progress 1
		.amdhsa_inst_pref_size 25
		.amdhsa_round_robin_scheduling 0
		.amdhsa_exception_fp_ieee_invalid_op 0
		.amdhsa_exception_fp_denorm_src 0
		.amdhsa_exception_fp_ieee_div_zero 0
		.amdhsa_exception_fp_ieee_overflow 0
		.amdhsa_exception_fp_ieee_underflow 0
		.amdhsa_exception_fp_ieee_inexact 0
		.amdhsa_exception_int_div_zero 0
	.end_amdhsa_kernel
	.section	.text._ZN2at6native12_GLOBAL__N_131replication_pad_backward_kernelIN3c108BFloat16EEEvN5torch10headeronly6detail27GenericPackedTensorAccessorINS7_14TensorAccessorINS3_8ArrayRefIlEET_Lm4ENS6_16DefaultPtrTraitsElEENS_6detail16IndexBoundsCheckILm5ElEESC_Lm5ESD_lEENS8_INS9_ISB_KSC_Lm4ESD_lEESH_SJ_Lm5ESD_lEEiiiii,"axG",@progbits,_ZN2at6native12_GLOBAL__N_131replication_pad_backward_kernelIN3c108BFloat16EEEvN5torch10headeronly6detail27GenericPackedTensorAccessorINS7_14TensorAccessorINS3_8ArrayRefIlEET_Lm4ENS6_16DefaultPtrTraitsElEENS_6detail16IndexBoundsCheckILm5ElEESC_Lm5ESD_lEENS8_INS9_ISB_KSC_Lm4ESD_lEESH_SJ_Lm5ESD_lEEiiiii,comdat
.Lfunc_end11:
	.size	_ZN2at6native12_GLOBAL__N_131replication_pad_backward_kernelIN3c108BFloat16EEEvN5torch10headeronly6detail27GenericPackedTensorAccessorINS7_14TensorAccessorINS3_8ArrayRefIlEET_Lm4ENS6_16DefaultPtrTraitsElEENS_6detail16IndexBoundsCheckILm5ElEESC_Lm5ESD_lEENS8_INS9_ISB_KSC_Lm4ESD_lEESH_SJ_Lm5ESD_lEEiiiii, .Lfunc_end11-_ZN2at6native12_GLOBAL__N_131replication_pad_backward_kernelIN3c108BFloat16EEEvN5torch10headeronly6detail27GenericPackedTensorAccessorINS7_14TensorAccessorINS3_8ArrayRefIlEET_Lm4ENS6_16DefaultPtrTraitsElEENS_6detail16IndexBoundsCheckILm5ElEESC_Lm5ESD_lEENS8_INS9_ISB_KSC_Lm4ESD_lEESH_SJ_Lm5ESD_lEEiiiii
                                        ; -- End function
	.set _ZN2at6native12_GLOBAL__N_131replication_pad_backward_kernelIN3c108BFloat16EEEvN5torch10headeronly6detail27GenericPackedTensorAccessorINS7_14TensorAccessorINS3_8ArrayRefIlEET_Lm4ENS6_16DefaultPtrTraitsElEENS_6detail16IndexBoundsCheckILm5ElEESC_Lm5ESD_lEENS8_INS9_ISB_KSC_Lm4ESD_lEESH_SJ_Lm5ESD_lEEiiiii.num_vgpr, 22
	.set _ZN2at6native12_GLOBAL__N_131replication_pad_backward_kernelIN3c108BFloat16EEEvN5torch10headeronly6detail27GenericPackedTensorAccessorINS7_14TensorAccessorINS3_8ArrayRefIlEET_Lm4ENS6_16DefaultPtrTraitsElEENS_6detail16IndexBoundsCheckILm5ElEESC_Lm5ESD_lEENS8_INS9_ISB_KSC_Lm4ESD_lEESH_SJ_Lm5ESD_lEEiiiii.num_agpr, 0
	.set _ZN2at6native12_GLOBAL__N_131replication_pad_backward_kernelIN3c108BFloat16EEEvN5torch10headeronly6detail27GenericPackedTensorAccessorINS7_14TensorAccessorINS3_8ArrayRefIlEET_Lm4ENS6_16DefaultPtrTraitsElEENS_6detail16IndexBoundsCheckILm5ElEESC_Lm5ESD_lEENS8_INS9_ISB_KSC_Lm4ESD_lEESH_SJ_Lm5ESD_lEEiiiii.numbered_sgpr, 34
	.set _ZN2at6native12_GLOBAL__N_131replication_pad_backward_kernelIN3c108BFloat16EEEvN5torch10headeronly6detail27GenericPackedTensorAccessorINS7_14TensorAccessorINS3_8ArrayRefIlEET_Lm4ENS6_16DefaultPtrTraitsElEENS_6detail16IndexBoundsCheckILm5ElEESC_Lm5ESD_lEENS8_INS9_ISB_KSC_Lm4ESD_lEESH_SJ_Lm5ESD_lEEiiiii.num_named_barrier, 0
	.set _ZN2at6native12_GLOBAL__N_131replication_pad_backward_kernelIN3c108BFloat16EEEvN5torch10headeronly6detail27GenericPackedTensorAccessorINS7_14TensorAccessorINS3_8ArrayRefIlEET_Lm4ENS6_16DefaultPtrTraitsElEENS_6detail16IndexBoundsCheckILm5ElEESC_Lm5ESD_lEENS8_INS9_ISB_KSC_Lm4ESD_lEESH_SJ_Lm5ESD_lEEiiiii.private_seg_size, 0
	.set _ZN2at6native12_GLOBAL__N_131replication_pad_backward_kernelIN3c108BFloat16EEEvN5torch10headeronly6detail27GenericPackedTensorAccessorINS7_14TensorAccessorINS3_8ArrayRefIlEET_Lm4ENS6_16DefaultPtrTraitsElEENS_6detail16IndexBoundsCheckILm5ElEESC_Lm5ESD_lEENS8_INS9_ISB_KSC_Lm4ESD_lEESH_SJ_Lm5ESD_lEEiiiii.uses_vcc, 1
	.set _ZN2at6native12_GLOBAL__N_131replication_pad_backward_kernelIN3c108BFloat16EEEvN5torch10headeronly6detail27GenericPackedTensorAccessorINS7_14TensorAccessorINS3_8ArrayRefIlEET_Lm4ENS6_16DefaultPtrTraitsElEENS_6detail16IndexBoundsCheckILm5ElEESC_Lm5ESD_lEENS8_INS9_ISB_KSC_Lm4ESD_lEESH_SJ_Lm5ESD_lEEiiiii.uses_flat_scratch, 0
	.set _ZN2at6native12_GLOBAL__N_131replication_pad_backward_kernelIN3c108BFloat16EEEvN5torch10headeronly6detail27GenericPackedTensorAccessorINS7_14TensorAccessorINS3_8ArrayRefIlEET_Lm4ENS6_16DefaultPtrTraitsElEENS_6detail16IndexBoundsCheckILm5ElEESC_Lm5ESD_lEENS8_INS9_ISB_KSC_Lm4ESD_lEESH_SJ_Lm5ESD_lEEiiiii.has_dyn_sized_stack, 0
	.set _ZN2at6native12_GLOBAL__N_131replication_pad_backward_kernelIN3c108BFloat16EEEvN5torch10headeronly6detail27GenericPackedTensorAccessorINS7_14TensorAccessorINS3_8ArrayRefIlEET_Lm4ENS6_16DefaultPtrTraitsElEENS_6detail16IndexBoundsCheckILm5ElEESC_Lm5ESD_lEENS8_INS9_ISB_KSC_Lm4ESD_lEESH_SJ_Lm5ESD_lEEiiiii.has_recursion, 0
	.set _ZN2at6native12_GLOBAL__N_131replication_pad_backward_kernelIN3c108BFloat16EEEvN5torch10headeronly6detail27GenericPackedTensorAccessorINS7_14TensorAccessorINS3_8ArrayRefIlEET_Lm4ENS6_16DefaultPtrTraitsElEENS_6detail16IndexBoundsCheckILm5ElEESC_Lm5ESD_lEENS8_INS9_ISB_KSC_Lm4ESD_lEESH_SJ_Lm5ESD_lEEiiiii.has_indirect_call, 0
	.section	.AMDGPU.csdata,"",@progbits
; Kernel info:
; codeLenInByte = 3088
; TotalNumSgprs: 36
; NumVgprs: 22
; ScratchSize: 0
; MemoryBound: 0
; FloatMode: 240
; IeeeMode: 1
; LDSByteSize: 0 bytes/workgroup (compile time only)
; SGPRBlocks: 0
; VGPRBlocks: 1
; NumSGPRsForWavesPerEU: 36
; NumVGPRsForWavesPerEU: 22
; NamedBarCnt: 0
; Occupancy: 16
; WaveLimiterHint : 1
; COMPUTE_PGM_RSRC2:SCRATCH_EN: 0
; COMPUTE_PGM_RSRC2:USER_SGPR: 2
; COMPUTE_PGM_RSRC2:TRAP_HANDLER: 0
; COMPUTE_PGM_RSRC2:TGID_X_EN: 1
; COMPUTE_PGM_RSRC2:TGID_Y_EN: 1
; COMPUTE_PGM_RSRC2:TGID_Z_EN: 1
; COMPUTE_PGM_RSRC2:TIDIG_COMP_CNT: 0
	.section	.text._ZN2at6native12_GLOBAL__N_132replication_pad_forward_kernel1dIhEEvN5torch10headeronly6detail27GenericPackedTensorAccessorINS5_14TensorAccessorIN3c108ArrayRefIlEEKT_Lm2ENS4_16DefaultPtrTraitsElEENS_6detail16IndexBoundsCheckILm3ElEESC_Lm3ESD_lEENS6_INS7_ISA_SB_Lm2ESD_lEESH_SB_Lm3ESD_lEEiii,"axG",@progbits,_ZN2at6native12_GLOBAL__N_132replication_pad_forward_kernel1dIhEEvN5torch10headeronly6detail27GenericPackedTensorAccessorINS5_14TensorAccessorIN3c108ArrayRefIlEEKT_Lm2ENS4_16DefaultPtrTraitsElEENS_6detail16IndexBoundsCheckILm3ElEESC_Lm3ESD_lEENS6_INS7_ISA_SB_Lm2ESD_lEESH_SB_Lm3ESD_lEEiii,comdat
	.globl	_ZN2at6native12_GLOBAL__N_132replication_pad_forward_kernel1dIhEEvN5torch10headeronly6detail27GenericPackedTensorAccessorINS5_14TensorAccessorIN3c108ArrayRefIlEEKT_Lm2ENS4_16DefaultPtrTraitsElEENS_6detail16IndexBoundsCheckILm3ElEESC_Lm3ESD_lEENS6_INS7_ISA_SB_Lm2ESD_lEESH_SB_Lm3ESD_lEEiii ; -- Begin function _ZN2at6native12_GLOBAL__N_132replication_pad_forward_kernel1dIhEEvN5torch10headeronly6detail27GenericPackedTensorAccessorINS5_14TensorAccessorIN3c108ArrayRefIlEEKT_Lm2ENS4_16DefaultPtrTraitsElEENS_6detail16IndexBoundsCheckILm3ElEESC_Lm3ESD_lEENS6_INS7_ISA_SB_Lm2ESD_lEESH_SB_Lm3ESD_lEEiii
	.p2align	8
	.type	_ZN2at6native12_GLOBAL__N_132replication_pad_forward_kernel1dIhEEvN5torch10headeronly6detail27GenericPackedTensorAccessorINS5_14TensorAccessorIN3c108ArrayRefIlEEKT_Lm2ENS4_16DefaultPtrTraitsElEENS_6detail16IndexBoundsCheckILm3ElEESC_Lm3ESD_lEENS6_INS7_ISA_SB_Lm2ESD_lEESH_SB_Lm3ESD_lEEiii,@function
_ZN2at6native12_GLOBAL__N_132replication_pad_forward_kernel1dIhEEvN5torch10headeronly6detail27GenericPackedTensorAccessorINS5_14TensorAccessorIN3c108ArrayRefIlEEKT_Lm2ENS4_16DefaultPtrTraitsElEENS_6detail16IndexBoundsCheckILm3ElEESC_Lm3ESD_lEENS6_INS7_ISA_SB_Lm2ESD_lEESH_SB_Lm3ESD_lEEiii: ; @_ZN2at6native12_GLOBAL__N_132replication_pad_forward_kernel1dIhEEvN5torch10headeronly6detail27GenericPackedTensorAccessorINS5_14TensorAccessorIN3c108ArrayRefIlEEKT_Lm2ENS4_16DefaultPtrTraitsElEENS_6detail16IndexBoundsCheckILm3ElEESC_Lm3ESD_lEENS6_INS7_ISA_SB_Lm2ESD_lEESH_SB_Lm3ESD_lEEiii
; %bb.0:
	s_clause 0x1
	s_load_b32 s2, s[0:1], 0x8c
	s_load_b64 s[4:5], s[0:1], 0x50
	s_bfe_u32 s3, ttmp6, 0x4000c
	v_mov_b32_e32 v2, 0
	s_add_co_i32 s7, s3, 1
	s_and_b32 s6, ttmp6, 15
	s_mul_i32 s7, ttmp9, s7
	s_getreg_b32 s3, hwreg(HW_REG_IB_STS2, 6, 4)
	v_mov_b32_e32 v1, v2
	s_add_co_i32 s6, s6, s7
	s_wait_kmcnt 0x0
	s_and_b32 s2, s2, 0xffff
	s_cmp_eq_u32 s3, 0
	s_cselect_b32 s6, ttmp9, s6
	s_delay_alu instid0(SALU_CYCLE_1) | instskip(SKIP_1) | instid1(VALU_DEP_1)
	v_mad_nc_u64_u32 v[0:1], s2, s6, v[0:1]
	s_mov_b32 s2, exec_lo
	v_cmpx_gt_i64_e64 s[4:5], v[0:1]
	s_cbranch_execz .LBB12_6
; %bb.1:
	v_or_b32_e32 v3, s5, v1
	s_delay_alu instid0(VALU_DEP_1) | instskip(SKIP_1) | instid1(SALU_CYCLE_1)
	v_cmp_ne_u64_e32 vcc_lo, 0, v[2:3]
                                        ; implicit-def: $vgpr2_vgpr3
	s_and_saveexec_b32 s2, vcc_lo
	s_xor_b32 s6, exec_lo, s2
	s_cbranch_execz .LBB12_3
; %bb.2:
	s_cvt_f32_u32 s2, s4
	s_cvt_f32_u32 s7, s5
	s_sub_nc_u64 s[10:11], 0, s[4:5]
	s_mov_b32 s15, 0
	v_dual_mov_b32 v3, 0 :: v_dual_mov_b32 v2, v0
	s_fmamk_f32 s2, s7, 0x4f800000, s2
	s_delay_alu instid0(SALU_CYCLE_3) | instskip(NEXT) | instid1(TRANS32_DEP_1)
	v_s_rcp_f32 s2, s2
	s_mul_f32 s2, s2, 0x5f7ffffc
	s_delay_alu instid0(SALU_CYCLE_3) | instskip(NEXT) | instid1(SALU_CYCLE_3)
	s_mul_f32 s7, s2, 0x2f800000
	s_trunc_f32 s7, s7
	s_delay_alu instid0(SALU_CYCLE_3) | instskip(SKIP_1) | instid1(SALU_CYCLE_2)
	s_fmamk_f32 s2, s7, 0xcf800000, s2
	s_cvt_u32_f32 s9, s7
	s_cvt_u32_f32 s8, s2
	s_delay_alu instid0(SALU_CYCLE_3) | instskip(NEXT) | instid1(SALU_CYCLE_1)
	s_mul_u64 s[12:13], s[10:11], s[8:9]
	s_mul_hi_u32 s17, s8, s13
	s_mul_i32 s16, s8, s13
	s_mul_hi_u32 s14, s8, s12
	s_mul_i32 s7, s9, s12
	s_add_nc_u64 s[16:17], s[14:15], s[16:17]
	s_mul_hi_u32 s2, s9, s12
	s_mul_hi_u32 s18, s9, s13
	s_add_co_u32 s7, s16, s7
	s_add_co_ci_u32 s14, s17, s2
	s_mul_i32 s12, s9, s13
	s_add_co_ci_u32 s13, s18, 0
	s_delay_alu instid0(SALU_CYCLE_1) | instskip(NEXT) | instid1(SALU_CYCLE_1)
	s_add_nc_u64 s[12:13], s[14:15], s[12:13]
	s_add_co_u32 s8, s8, s12
	s_cselect_b32 s2, -1, 0
	s_delay_alu instid0(SALU_CYCLE_1) | instskip(SKIP_1) | instid1(SALU_CYCLE_1)
	s_cmp_lg_u32 s2, 0
	s_add_co_ci_u32 s9, s9, s13
	s_mul_u64 s[10:11], s[10:11], s[8:9]
	s_delay_alu instid0(SALU_CYCLE_1)
	s_mul_hi_u32 s13, s8, s11
	s_mul_i32 s12, s8, s11
	s_mul_hi_u32 s14, s8, s10
	s_mul_i32 s7, s9, s10
	s_add_nc_u64 s[12:13], s[14:15], s[12:13]
	s_mul_hi_u32 s2, s9, s10
	s_mul_hi_u32 s16, s9, s11
	s_add_co_u32 s7, s12, s7
	s_add_co_ci_u32 s14, s13, s2
	s_mul_i32 s10, s9, s11
	s_add_co_ci_u32 s11, s16, 0
	s_delay_alu instid0(SALU_CYCLE_1) | instskip(NEXT) | instid1(SALU_CYCLE_1)
	s_add_nc_u64 s[10:11], s[14:15], s[10:11]
	s_add_co_u32 s2, s8, s10
	s_cselect_b32 s7, -1, 0
	s_delay_alu instid0(SALU_CYCLE_1)
	s_cmp_lg_u32 s7, 0
	s_add_co_ci_u32 s14, s9, s11
	s_mov_b64 s[8:9], 0xffffffff
	v_mul_u64_e32 v[4:5], s[14:15], v[2:3]
	v_mul_hi_u32 v2, v0, s2
	s_and_b64 s[8:9], s[2:3], s[8:9]
	s_delay_alu instid0(VALU_DEP_1) | instskip(SKIP_1) | instid1(VALU_DEP_1)
	v_add_nc_u64_e32 v[4:5], v[2:3], v[4:5]
	v_mov_b32_e32 v2, v1
	v_mul_u64_e32 v[6:7], s[8:9], v[2:3]
	v_mul_u64_e32 v[8:9], s[14:15], v[2:3]
	s_delay_alu instid0(VALU_DEP_2) | instskip(NEXT) | instid1(VALU_DEP_3)
	v_add_co_u32 v2, vcc_lo, v4, v6
	v_add_co_ci_u32_e32 v2, vcc_lo, v5, v7, vcc_lo
	s_delay_alu instid0(VALU_DEP_3) | instskip(NEXT) | instid1(VALU_DEP_1)
	v_add_co_ci_u32_e32 v9, vcc_lo, 0, v9, vcc_lo
	v_add_nc_u64_e32 v[2:3], v[2:3], v[8:9]
	s_delay_alu instid0(VALU_DEP_1) | instskip(NEXT) | instid1(VALU_DEP_1)
	v_mul_u64_e32 v[2:3], s[4:5], v[2:3]
	v_sub_nc_u32_e32 v4, v1, v3
	s_delay_alu instid0(VALU_DEP_2) | instskip(NEXT) | instid1(VALU_DEP_1)
	v_sub_co_u32 v0, vcc_lo, v0, v2
	v_sub_co_ci_u32_e64 v1, null, v1, v3, vcc_lo
	s_delay_alu instid0(VALU_DEP_3) | instskip(NEXT) | instid1(VALU_DEP_3)
	v_subrev_co_ci_u32_e64 v2, null, s5, v4, vcc_lo
	v_sub_co_u32 v3, vcc_lo, v0, s4
	v_cmp_le_u32_e64 s2, s4, v0
	s_delay_alu instid0(VALU_DEP_3) | instskip(SKIP_1) | instid1(VALU_DEP_3)
	v_subrev_co_ci_u32_e64 v4, null, 0, v2, vcc_lo
	v_subrev_co_ci_u32_e64 v2, null, s5, v2, vcc_lo
	v_cndmask_b32_e64 v5, 0, -1, s2
	v_cmp_le_u32_e64 s2, s4, v3
	v_cmp_le_u32_e32 vcc_lo, s5, v1
	s_delay_alu instid0(VALU_DEP_2) | instskip(SKIP_3) | instid1(VALU_DEP_3)
	v_cndmask_b32_e64 v6, 0, -1, s2
	v_cmp_le_u32_e64 s2, s5, v4
	v_cndmask_b32_e64 v8, 0, -1, vcc_lo
	v_cmp_eq_u32_e32 vcc_lo, s5, v4
	v_cndmask_b32_e64 v7, 0, -1, s2
	v_cmp_eq_u32_e64 s2, s5, v1
	s_delay_alu instid0(VALU_DEP_1) | instskip(SKIP_1) | instid1(VALU_DEP_1)
	v_dual_cndmask_b32 v6, v7, v6, vcc_lo :: v_dual_cndmask_b32 v5, v8, v5, s2
	v_sub_co_u32 v7, vcc_lo, v3, s4
	v_subrev_co_ci_u32_e64 v2, null, 0, v2, vcc_lo
	s_delay_alu instid0(VALU_DEP_3) | instskip(NEXT) | instid1(VALU_DEP_2)
	v_cmp_ne_u32_e32 vcc_lo, 0, v6
	v_dual_cndmask_b32 v2, v4, v2, vcc_lo :: v_dual_cndmask_b32 v4, v3, v7, vcc_lo
	v_cmp_ne_u32_e32 vcc_lo, 0, v5
	s_delay_alu instid0(VALU_DEP_2)
	v_dual_cndmask_b32 v3, v1, v2 :: v_dual_cndmask_b32 v2, v0, v4
                                        ; implicit-def: $vgpr0_vgpr1
.LBB12_3:
	s_and_not1_saveexec_b32 s2, s6
	s_cbranch_execz .LBB12_5
; %bb.4:
	v_cvt_f32_u32_e32 v1, s4
	s_sub_co_i32 s5, 0, s4
	v_mov_b32_e32 v3, 0
	s_delay_alu instid0(VALU_DEP_2) | instskip(SKIP_1) | instid1(TRANS32_DEP_1)
	v_rcp_iflag_f32_e32 v1, v1
	v_nop
	v_mul_f32_e32 v1, 0x4f7ffffe, v1
	s_delay_alu instid0(VALU_DEP_1) | instskip(NEXT) | instid1(VALU_DEP_1)
	v_cvt_u32_f32_e32 v1, v1
	v_mul_lo_u32 v2, s5, v1
	s_delay_alu instid0(VALU_DEP_1) | instskip(NEXT) | instid1(VALU_DEP_1)
	v_mul_hi_u32 v2, v1, v2
	v_add_nc_u32_e32 v1, v1, v2
	s_delay_alu instid0(VALU_DEP_1) | instskip(NEXT) | instid1(VALU_DEP_1)
	v_mul_hi_u32 v1, v0, v1
	v_mul_lo_u32 v1, v1, s4
	s_delay_alu instid0(VALU_DEP_1) | instskip(NEXT) | instid1(VALU_DEP_1)
	v_sub_nc_u32_e32 v0, v0, v1
	v_subrev_nc_u32_e32 v1, s4, v0
	v_cmp_le_u32_e32 vcc_lo, s4, v0
	s_delay_alu instid0(VALU_DEP_2) | instskip(NEXT) | instid1(VALU_DEP_1)
	v_cndmask_b32_e32 v0, v0, v1, vcc_lo
	v_subrev_nc_u32_e32 v1, s4, v0
	v_cmp_le_u32_e32 vcc_lo, s4, v0
	s_delay_alu instid0(VALU_DEP_2)
	v_cndmask_b32_e32 v2, v0, v1, vcc_lo
.LBB12_5:
	s_or_b32 exec_lo, exec_lo, s2
	s_clause 0x2
	s_load_b96 s[12:14], s[0:1], 0x70
	s_load_b256 s[4:11], s[0:1], 0x18
	s_load_b64 s[16:17], s[0:1], 0x0
	s_bfe_u32 s2, ttmp6, 0x40014
	s_bfe_u32 s20, ttmp6, 0x40010
	s_lshr_b32 s18, ttmp7, 16
	s_and_b32 s19, ttmp7, 0xffff
	s_add_co_i32 s2, s2, 1
	s_add_co_i32 s20, s20, 1
	s_wait_kmcnt 0x0
	s_bfe_u32 s5, ttmp6, 0x40008
	s_bfe_u32 s21, ttmp6, 0x40004
	s_mul_i32 s2, s18, s2
	s_mul_i32 s20, s19, s20
	s_add_co_i32 s5, s5, s2
	s_add_co_i32 s21, s21, s20
	s_cmp_eq_u32 s3, 0
	s_load_b64 s[2:3], s[0:1], 0x68
	s_cselect_b32 s5, s18, s5
	s_cselect_b32 s18, s19, s21
	s_mov_b32 s15, 0
	s_add_co_i32 s14, s14, s5
	s_add_co_i32 s4, s12, s4
	s_sub_co_i32 s5, 0, s12
	s_add_co_i32 s4, s4, -1
	s_max_i32 s5, s5, 0
	v_maxmin_i32 v0, s12, v2, s4
	s_max_i32 s4, s12, 0
	s_add_co_i32 s18, s13, s18
	s_sub_co_i32 s12, s5, s4
	s_mov_b32 s19, s15
	s_mul_u64 s[4:5], s[6:7], s[14:15]
	v_add_nc_u32_e32 v4, s12, v0
	s_add_nc_u64 s[4:5], s[16:17], s[4:5]
	s_mul_u64 s[6:7], s[8:9], s[18:19]
	s_delay_alu instid0(SALU_CYCLE_1)
	s_add_nc_u64 s[4:5], s[4:5], s[6:7]
	s_delay_alu instid0(VALU_DEP_1) | instid1(SALU_CYCLE_1)
	v_mad_nc_u64_u32 v[0:1], s10, v4, s[4:5]
	s_delay_alu instid0(VALU_DEP_1) | instskip(SKIP_1) | instid1(VALU_DEP_1)
	v_mad_u32 v1, s11, v4, v1
	v_ashrrev_i32_e32 v4, 31, v4
	v_mad_u32 v1, s10, v4, v1
	global_load_u8 v4, v[0:1], off
	s_clause 0x1
	s_load_b128 s[4:7], s[0:1], 0x58
	s_load_b64 s[8:9], s[0:1], 0x38
	s_wait_kmcnt 0x0
	s_mul_u64 s[0:1], s[4:5], s[14:15]
	s_mul_u64 s[4:5], s[6:7], s[18:19]
	s_add_nc_u64 s[0:1], s[8:9], s[0:1]
	s_delay_alu instid0(SALU_CYCLE_1) | instskip(NEXT) | instid1(SALU_CYCLE_1)
	s_add_nc_u64 s[0:1], s[0:1], s[4:5]
	v_mad_nc_u64_u32 v[0:1], s2, v2, s[0:1]
	s_delay_alu instid0(VALU_DEP_1) | instskip(NEXT) | instid1(VALU_DEP_1)
	v_mad_u32 v1, s3, v2, v1
	v_mad_u32 v1, s2, v3, v1
	s_wait_loadcnt 0x0
	global_store_b8 v[0:1], v4, off
.LBB12_6:
	s_endpgm
	.section	.rodata,"a",@progbits
	.p2align	6, 0x0
	.amdhsa_kernel _ZN2at6native12_GLOBAL__N_132replication_pad_forward_kernel1dIhEEvN5torch10headeronly6detail27GenericPackedTensorAccessorINS5_14TensorAccessorIN3c108ArrayRefIlEEKT_Lm2ENS4_16DefaultPtrTraitsElEENS_6detail16IndexBoundsCheckILm3ElEESC_Lm3ESD_lEENS6_INS7_ISA_SB_Lm2ESD_lEESH_SB_Lm3ESD_lEEiii
		.amdhsa_group_segment_fixed_size 0
		.amdhsa_private_segment_fixed_size 0
		.amdhsa_kernarg_size 384
		.amdhsa_user_sgpr_count 2
		.amdhsa_user_sgpr_dispatch_ptr 0
		.amdhsa_user_sgpr_queue_ptr 0
		.amdhsa_user_sgpr_kernarg_segment_ptr 1
		.amdhsa_user_sgpr_dispatch_id 0
		.amdhsa_user_sgpr_kernarg_preload_length 0
		.amdhsa_user_sgpr_kernarg_preload_offset 0
		.amdhsa_user_sgpr_private_segment_size 0
		.amdhsa_wavefront_size32 1
		.amdhsa_uses_dynamic_stack 0
		.amdhsa_enable_private_segment 0
		.amdhsa_system_sgpr_workgroup_id_x 1
		.amdhsa_system_sgpr_workgroup_id_y 1
		.amdhsa_system_sgpr_workgroup_id_z 1
		.amdhsa_system_sgpr_workgroup_info 0
		.amdhsa_system_vgpr_workitem_id 0
		.amdhsa_next_free_vgpr 10
		.amdhsa_next_free_sgpr 22
		.amdhsa_named_barrier_count 0
		.amdhsa_reserve_vcc 1
		.amdhsa_float_round_mode_32 0
		.amdhsa_float_round_mode_16_64 0
		.amdhsa_float_denorm_mode_32 3
		.amdhsa_float_denorm_mode_16_64 3
		.amdhsa_fp16_overflow 0
		.amdhsa_memory_ordered 1
		.amdhsa_forward_progress 1
		.amdhsa_inst_pref_size 9
		.amdhsa_round_robin_scheduling 0
		.amdhsa_exception_fp_ieee_invalid_op 0
		.amdhsa_exception_fp_denorm_src 0
		.amdhsa_exception_fp_ieee_div_zero 0
		.amdhsa_exception_fp_ieee_overflow 0
		.amdhsa_exception_fp_ieee_underflow 0
		.amdhsa_exception_fp_ieee_inexact 0
		.amdhsa_exception_int_div_zero 0
	.end_amdhsa_kernel
	.section	.text._ZN2at6native12_GLOBAL__N_132replication_pad_forward_kernel1dIhEEvN5torch10headeronly6detail27GenericPackedTensorAccessorINS5_14TensorAccessorIN3c108ArrayRefIlEEKT_Lm2ENS4_16DefaultPtrTraitsElEENS_6detail16IndexBoundsCheckILm3ElEESC_Lm3ESD_lEENS6_INS7_ISA_SB_Lm2ESD_lEESH_SB_Lm3ESD_lEEiii,"axG",@progbits,_ZN2at6native12_GLOBAL__N_132replication_pad_forward_kernel1dIhEEvN5torch10headeronly6detail27GenericPackedTensorAccessorINS5_14TensorAccessorIN3c108ArrayRefIlEEKT_Lm2ENS4_16DefaultPtrTraitsElEENS_6detail16IndexBoundsCheckILm3ElEESC_Lm3ESD_lEENS6_INS7_ISA_SB_Lm2ESD_lEESH_SB_Lm3ESD_lEEiii,comdat
.Lfunc_end12:
	.size	_ZN2at6native12_GLOBAL__N_132replication_pad_forward_kernel1dIhEEvN5torch10headeronly6detail27GenericPackedTensorAccessorINS5_14TensorAccessorIN3c108ArrayRefIlEEKT_Lm2ENS4_16DefaultPtrTraitsElEENS_6detail16IndexBoundsCheckILm3ElEESC_Lm3ESD_lEENS6_INS7_ISA_SB_Lm2ESD_lEESH_SB_Lm3ESD_lEEiii, .Lfunc_end12-_ZN2at6native12_GLOBAL__N_132replication_pad_forward_kernel1dIhEEvN5torch10headeronly6detail27GenericPackedTensorAccessorINS5_14TensorAccessorIN3c108ArrayRefIlEEKT_Lm2ENS4_16DefaultPtrTraitsElEENS_6detail16IndexBoundsCheckILm3ElEESC_Lm3ESD_lEENS6_INS7_ISA_SB_Lm2ESD_lEESH_SB_Lm3ESD_lEEiii
                                        ; -- End function
	.set _ZN2at6native12_GLOBAL__N_132replication_pad_forward_kernel1dIhEEvN5torch10headeronly6detail27GenericPackedTensorAccessorINS5_14TensorAccessorIN3c108ArrayRefIlEEKT_Lm2ENS4_16DefaultPtrTraitsElEENS_6detail16IndexBoundsCheckILm3ElEESC_Lm3ESD_lEENS6_INS7_ISA_SB_Lm2ESD_lEESH_SB_Lm3ESD_lEEiii.num_vgpr, 10
	.set _ZN2at6native12_GLOBAL__N_132replication_pad_forward_kernel1dIhEEvN5torch10headeronly6detail27GenericPackedTensorAccessorINS5_14TensorAccessorIN3c108ArrayRefIlEEKT_Lm2ENS4_16DefaultPtrTraitsElEENS_6detail16IndexBoundsCheckILm3ElEESC_Lm3ESD_lEENS6_INS7_ISA_SB_Lm2ESD_lEESH_SB_Lm3ESD_lEEiii.num_agpr, 0
	.set _ZN2at6native12_GLOBAL__N_132replication_pad_forward_kernel1dIhEEvN5torch10headeronly6detail27GenericPackedTensorAccessorINS5_14TensorAccessorIN3c108ArrayRefIlEEKT_Lm2ENS4_16DefaultPtrTraitsElEENS_6detail16IndexBoundsCheckILm3ElEESC_Lm3ESD_lEENS6_INS7_ISA_SB_Lm2ESD_lEESH_SB_Lm3ESD_lEEiii.numbered_sgpr, 22
	.set _ZN2at6native12_GLOBAL__N_132replication_pad_forward_kernel1dIhEEvN5torch10headeronly6detail27GenericPackedTensorAccessorINS5_14TensorAccessorIN3c108ArrayRefIlEEKT_Lm2ENS4_16DefaultPtrTraitsElEENS_6detail16IndexBoundsCheckILm3ElEESC_Lm3ESD_lEENS6_INS7_ISA_SB_Lm2ESD_lEESH_SB_Lm3ESD_lEEiii.num_named_barrier, 0
	.set _ZN2at6native12_GLOBAL__N_132replication_pad_forward_kernel1dIhEEvN5torch10headeronly6detail27GenericPackedTensorAccessorINS5_14TensorAccessorIN3c108ArrayRefIlEEKT_Lm2ENS4_16DefaultPtrTraitsElEENS_6detail16IndexBoundsCheckILm3ElEESC_Lm3ESD_lEENS6_INS7_ISA_SB_Lm2ESD_lEESH_SB_Lm3ESD_lEEiii.private_seg_size, 0
	.set _ZN2at6native12_GLOBAL__N_132replication_pad_forward_kernel1dIhEEvN5torch10headeronly6detail27GenericPackedTensorAccessorINS5_14TensorAccessorIN3c108ArrayRefIlEEKT_Lm2ENS4_16DefaultPtrTraitsElEENS_6detail16IndexBoundsCheckILm3ElEESC_Lm3ESD_lEENS6_INS7_ISA_SB_Lm2ESD_lEESH_SB_Lm3ESD_lEEiii.uses_vcc, 1
	.set _ZN2at6native12_GLOBAL__N_132replication_pad_forward_kernel1dIhEEvN5torch10headeronly6detail27GenericPackedTensorAccessorINS5_14TensorAccessorIN3c108ArrayRefIlEEKT_Lm2ENS4_16DefaultPtrTraitsElEENS_6detail16IndexBoundsCheckILm3ElEESC_Lm3ESD_lEENS6_INS7_ISA_SB_Lm2ESD_lEESH_SB_Lm3ESD_lEEiii.uses_flat_scratch, 0
	.set _ZN2at6native12_GLOBAL__N_132replication_pad_forward_kernel1dIhEEvN5torch10headeronly6detail27GenericPackedTensorAccessorINS5_14TensorAccessorIN3c108ArrayRefIlEEKT_Lm2ENS4_16DefaultPtrTraitsElEENS_6detail16IndexBoundsCheckILm3ElEESC_Lm3ESD_lEENS6_INS7_ISA_SB_Lm2ESD_lEESH_SB_Lm3ESD_lEEiii.has_dyn_sized_stack, 0
	.set _ZN2at6native12_GLOBAL__N_132replication_pad_forward_kernel1dIhEEvN5torch10headeronly6detail27GenericPackedTensorAccessorINS5_14TensorAccessorIN3c108ArrayRefIlEEKT_Lm2ENS4_16DefaultPtrTraitsElEENS_6detail16IndexBoundsCheckILm3ElEESC_Lm3ESD_lEENS6_INS7_ISA_SB_Lm2ESD_lEESH_SB_Lm3ESD_lEEiii.has_recursion, 0
	.set _ZN2at6native12_GLOBAL__N_132replication_pad_forward_kernel1dIhEEvN5torch10headeronly6detail27GenericPackedTensorAccessorINS5_14TensorAccessorIN3c108ArrayRefIlEEKT_Lm2ENS4_16DefaultPtrTraitsElEENS_6detail16IndexBoundsCheckILm3ElEESC_Lm3ESD_lEENS6_INS7_ISA_SB_Lm2ESD_lEESH_SB_Lm3ESD_lEEiii.has_indirect_call, 0
	.section	.AMDGPU.csdata,"",@progbits
; Kernel info:
; codeLenInByte = 1132
; TotalNumSgprs: 24
; NumVgprs: 10
; ScratchSize: 0
; MemoryBound: 0
; FloatMode: 240
; IeeeMode: 1
; LDSByteSize: 0 bytes/workgroup (compile time only)
; SGPRBlocks: 0
; VGPRBlocks: 0
; NumSGPRsForWavesPerEU: 24
; NumVGPRsForWavesPerEU: 10
; NamedBarCnt: 0
; Occupancy: 16
; WaveLimiterHint : 1
; COMPUTE_PGM_RSRC2:SCRATCH_EN: 0
; COMPUTE_PGM_RSRC2:USER_SGPR: 2
; COMPUTE_PGM_RSRC2:TRAP_HANDLER: 0
; COMPUTE_PGM_RSRC2:TGID_X_EN: 1
; COMPUTE_PGM_RSRC2:TGID_Y_EN: 1
; COMPUTE_PGM_RSRC2:TGID_Z_EN: 1
; COMPUTE_PGM_RSRC2:TIDIG_COMP_CNT: 0
	.section	.text._ZN2at6native12_GLOBAL__N_132replication_pad_forward_kernel1dIaEEvN5torch10headeronly6detail27GenericPackedTensorAccessorINS5_14TensorAccessorIN3c108ArrayRefIlEEKT_Lm2ENS4_16DefaultPtrTraitsElEENS_6detail16IndexBoundsCheckILm3ElEESC_Lm3ESD_lEENS6_INS7_ISA_SB_Lm2ESD_lEESH_SB_Lm3ESD_lEEiii,"axG",@progbits,_ZN2at6native12_GLOBAL__N_132replication_pad_forward_kernel1dIaEEvN5torch10headeronly6detail27GenericPackedTensorAccessorINS5_14TensorAccessorIN3c108ArrayRefIlEEKT_Lm2ENS4_16DefaultPtrTraitsElEENS_6detail16IndexBoundsCheckILm3ElEESC_Lm3ESD_lEENS6_INS7_ISA_SB_Lm2ESD_lEESH_SB_Lm3ESD_lEEiii,comdat
	.globl	_ZN2at6native12_GLOBAL__N_132replication_pad_forward_kernel1dIaEEvN5torch10headeronly6detail27GenericPackedTensorAccessorINS5_14TensorAccessorIN3c108ArrayRefIlEEKT_Lm2ENS4_16DefaultPtrTraitsElEENS_6detail16IndexBoundsCheckILm3ElEESC_Lm3ESD_lEENS6_INS7_ISA_SB_Lm2ESD_lEESH_SB_Lm3ESD_lEEiii ; -- Begin function _ZN2at6native12_GLOBAL__N_132replication_pad_forward_kernel1dIaEEvN5torch10headeronly6detail27GenericPackedTensorAccessorINS5_14TensorAccessorIN3c108ArrayRefIlEEKT_Lm2ENS4_16DefaultPtrTraitsElEENS_6detail16IndexBoundsCheckILm3ElEESC_Lm3ESD_lEENS6_INS7_ISA_SB_Lm2ESD_lEESH_SB_Lm3ESD_lEEiii
	.p2align	8
	.type	_ZN2at6native12_GLOBAL__N_132replication_pad_forward_kernel1dIaEEvN5torch10headeronly6detail27GenericPackedTensorAccessorINS5_14TensorAccessorIN3c108ArrayRefIlEEKT_Lm2ENS4_16DefaultPtrTraitsElEENS_6detail16IndexBoundsCheckILm3ElEESC_Lm3ESD_lEENS6_INS7_ISA_SB_Lm2ESD_lEESH_SB_Lm3ESD_lEEiii,@function
_ZN2at6native12_GLOBAL__N_132replication_pad_forward_kernel1dIaEEvN5torch10headeronly6detail27GenericPackedTensorAccessorINS5_14TensorAccessorIN3c108ArrayRefIlEEKT_Lm2ENS4_16DefaultPtrTraitsElEENS_6detail16IndexBoundsCheckILm3ElEESC_Lm3ESD_lEENS6_INS7_ISA_SB_Lm2ESD_lEESH_SB_Lm3ESD_lEEiii: ; @_ZN2at6native12_GLOBAL__N_132replication_pad_forward_kernel1dIaEEvN5torch10headeronly6detail27GenericPackedTensorAccessorINS5_14TensorAccessorIN3c108ArrayRefIlEEKT_Lm2ENS4_16DefaultPtrTraitsElEENS_6detail16IndexBoundsCheckILm3ElEESC_Lm3ESD_lEENS6_INS7_ISA_SB_Lm2ESD_lEESH_SB_Lm3ESD_lEEiii
; %bb.0:
	s_clause 0x1
	s_load_b32 s2, s[0:1], 0x8c
	s_load_b64 s[4:5], s[0:1], 0x50
	s_bfe_u32 s3, ttmp6, 0x4000c
	v_mov_b32_e32 v2, 0
	s_add_co_i32 s7, s3, 1
	s_and_b32 s6, ttmp6, 15
	s_mul_i32 s7, ttmp9, s7
	s_getreg_b32 s3, hwreg(HW_REG_IB_STS2, 6, 4)
	v_mov_b32_e32 v1, v2
	s_add_co_i32 s6, s6, s7
	s_wait_kmcnt 0x0
	s_and_b32 s2, s2, 0xffff
	s_cmp_eq_u32 s3, 0
	s_cselect_b32 s6, ttmp9, s6
	s_delay_alu instid0(SALU_CYCLE_1) | instskip(SKIP_1) | instid1(VALU_DEP_1)
	v_mad_nc_u64_u32 v[0:1], s2, s6, v[0:1]
	s_mov_b32 s2, exec_lo
	v_cmpx_gt_i64_e64 s[4:5], v[0:1]
	s_cbranch_execz .LBB13_6
; %bb.1:
	v_or_b32_e32 v3, s5, v1
	s_delay_alu instid0(VALU_DEP_1) | instskip(SKIP_1) | instid1(SALU_CYCLE_1)
	v_cmp_ne_u64_e32 vcc_lo, 0, v[2:3]
                                        ; implicit-def: $vgpr2_vgpr3
	s_and_saveexec_b32 s2, vcc_lo
	s_xor_b32 s6, exec_lo, s2
	s_cbranch_execz .LBB13_3
; %bb.2:
	s_cvt_f32_u32 s2, s4
	s_cvt_f32_u32 s7, s5
	s_sub_nc_u64 s[10:11], 0, s[4:5]
	s_mov_b32 s15, 0
	v_dual_mov_b32 v3, 0 :: v_dual_mov_b32 v2, v0
	s_fmamk_f32 s2, s7, 0x4f800000, s2
	s_delay_alu instid0(SALU_CYCLE_3) | instskip(NEXT) | instid1(TRANS32_DEP_1)
	v_s_rcp_f32 s2, s2
	s_mul_f32 s2, s2, 0x5f7ffffc
	s_delay_alu instid0(SALU_CYCLE_3) | instskip(NEXT) | instid1(SALU_CYCLE_3)
	s_mul_f32 s7, s2, 0x2f800000
	s_trunc_f32 s7, s7
	s_delay_alu instid0(SALU_CYCLE_3) | instskip(SKIP_1) | instid1(SALU_CYCLE_2)
	s_fmamk_f32 s2, s7, 0xcf800000, s2
	s_cvt_u32_f32 s9, s7
	s_cvt_u32_f32 s8, s2
	s_delay_alu instid0(SALU_CYCLE_3) | instskip(NEXT) | instid1(SALU_CYCLE_1)
	s_mul_u64 s[12:13], s[10:11], s[8:9]
	s_mul_hi_u32 s17, s8, s13
	s_mul_i32 s16, s8, s13
	s_mul_hi_u32 s14, s8, s12
	s_mul_i32 s7, s9, s12
	s_add_nc_u64 s[16:17], s[14:15], s[16:17]
	s_mul_hi_u32 s2, s9, s12
	s_mul_hi_u32 s18, s9, s13
	s_add_co_u32 s7, s16, s7
	s_add_co_ci_u32 s14, s17, s2
	s_mul_i32 s12, s9, s13
	s_add_co_ci_u32 s13, s18, 0
	s_delay_alu instid0(SALU_CYCLE_1) | instskip(NEXT) | instid1(SALU_CYCLE_1)
	s_add_nc_u64 s[12:13], s[14:15], s[12:13]
	s_add_co_u32 s8, s8, s12
	s_cselect_b32 s2, -1, 0
	s_delay_alu instid0(SALU_CYCLE_1) | instskip(SKIP_1) | instid1(SALU_CYCLE_1)
	s_cmp_lg_u32 s2, 0
	s_add_co_ci_u32 s9, s9, s13
	s_mul_u64 s[10:11], s[10:11], s[8:9]
	s_delay_alu instid0(SALU_CYCLE_1)
	s_mul_hi_u32 s13, s8, s11
	s_mul_i32 s12, s8, s11
	s_mul_hi_u32 s14, s8, s10
	s_mul_i32 s7, s9, s10
	s_add_nc_u64 s[12:13], s[14:15], s[12:13]
	s_mul_hi_u32 s2, s9, s10
	s_mul_hi_u32 s16, s9, s11
	s_add_co_u32 s7, s12, s7
	s_add_co_ci_u32 s14, s13, s2
	s_mul_i32 s10, s9, s11
	s_add_co_ci_u32 s11, s16, 0
	s_delay_alu instid0(SALU_CYCLE_1) | instskip(NEXT) | instid1(SALU_CYCLE_1)
	s_add_nc_u64 s[10:11], s[14:15], s[10:11]
	s_add_co_u32 s2, s8, s10
	s_cselect_b32 s7, -1, 0
	s_delay_alu instid0(SALU_CYCLE_1)
	s_cmp_lg_u32 s7, 0
	s_add_co_ci_u32 s14, s9, s11
	s_mov_b64 s[8:9], 0xffffffff
	v_mul_u64_e32 v[4:5], s[14:15], v[2:3]
	v_mul_hi_u32 v2, v0, s2
	s_and_b64 s[8:9], s[2:3], s[8:9]
	s_delay_alu instid0(VALU_DEP_1) | instskip(SKIP_1) | instid1(VALU_DEP_1)
	v_add_nc_u64_e32 v[4:5], v[2:3], v[4:5]
	v_mov_b32_e32 v2, v1
	v_mul_u64_e32 v[6:7], s[8:9], v[2:3]
	v_mul_u64_e32 v[8:9], s[14:15], v[2:3]
	s_delay_alu instid0(VALU_DEP_2) | instskip(NEXT) | instid1(VALU_DEP_3)
	v_add_co_u32 v2, vcc_lo, v4, v6
	v_add_co_ci_u32_e32 v2, vcc_lo, v5, v7, vcc_lo
	s_delay_alu instid0(VALU_DEP_3) | instskip(NEXT) | instid1(VALU_DEP_1)
	v_add_co_ci_u32_e32 v9, vcc_lo, 0, v9, vcc_lo
	v_add_nc_u64_e32 v[2:3], v[2:3], v[8:9]
	s_delay_alu instid0(VALU_DEP_1) | instskip(NEXT) | instid1(VALU_DEP_1)
	v_mul_u64_e32 v[2:3], s[4:5], v[2:3]
	v_sub_nc_u32_e32 v4, v1, v3
	s_delay_alu instid0(VALU_DEP_2) | instskip(NEXT) | instid1(VALU_DEP_1)
	v_sub_co_u32 v0, vcc_lo, v0, v2
	v_sub_co_ci_u32_e64 v1, null, v1, v3, vcc_lo
	s_delay_alu instid0(VALU_DEP_3) | instskip(NEXT) | instid1(VALU_DEP_3)
	v_subrev_co_ci_u32_e64 v2, null, s5, v4, vcc_lo
	v_sub_co_u32 v3, vcc_lo, v0, s4
	v_cmp_le_u32_e64 s2, s4, v0
	s_delay_alu instid0(VALU_DEP_3) | instskip(SKIP_1) | instid1(VALU_DEP_3)
	v_subrev_co_ci_u32_e64 v4, null, 0, v2, vcc_lo
	v_subrev_co_ci_u32_e64 v2, null, s5, v2, vcc_lo
	v_cndmask_b32_e64 v5, 0, -1, s2
	v_cmp_le_u32_e64 s2, s4, v3
	v_cmp_le_u32_e32 vcc_lo, s5, v1
	s_delay_alu instid0(VALU_DEP_2) | instskip(SKIP_3) | instid1(VALU_DEP_3)
	v_cndmask_b32_e64 v6, 0, -1, s2
	v_cmp_le_u32_e64 s2, s5, v4
	v_cndmask_b32_e64 v8, 0, -1, vcc_lo
	v_cmp_eq_u32_e32 vcc_lo, s5, v4
	v_cndmask_b32_e64 v7, 0, -1, s2
	v_cmp_eq_u32_e64 s2, s5, v1
	s_delay_alu instid0(VALU_DEP_1) | instskip(SKIP_1) | instid1(VALU_DEP_1)
	v_dual_cndmask_b32 v6, v7, v6, vcc_lo :: v_dual_cndmask_b32 v5, v8, v5, s2
	v_sub_co_u32 v7, vcc_lo, v3, s4
	v_subrev_co_ci_u32_e64 v2, null, 0, v2, vcc_lo
	s_delay_alu instid0(VALU_DEP_3) | instskip(NEXT) | instid1(VALU_DEP_2)
	v_cmp_ne_u32_e32 vcc_lo, 0, v6
	v_dual_cndmask_b32 v2, v4, v2, vcc_lo :: v_dual_cndmask_b32 v4, v3, v7, vcc_lo
	v_cmp_ne_u32_e32 vcc_lo, 0, v5
	s_delay_alu instid0(VALU_DEP_2)
	v_dual_cndmask_b32 v3, v1, v2 :: v_dual_cndmask_b32 v2, v0, v4
                                        ; implicit-def: $vgpr0_vgpr1
.LBB13_3:
	s_and_not1_saveexec_b32 s2, s6
	s_cbranch_execz .LBB13_5
; %bb.4:
	v_cvt_f32_u32_e32 v1, s4
	s_sub_co_i32 s5, 0, s4
	v_mov_b32_e32 v3, 0
	s_delay_alu instid0(VALU_DEP_2) | instskip(SKIP_1) | instid1(TRANS32_DEP_1)
	v_rcp_iflag_f32_e32 v1, v1
	v_nop
	v_mul_f32_e32 v1, 0x4f7ffffe, v1
	s_delay_alu instid0(VALU_DEP_1) | instskip(NEXT) | instid1(VALU_DEP_1)
	v_cvt_u32_f32_e32 v1, v1
	v_mul_lo_u32 v2, s5, v1
	s_delay_alu instid0(VALU_DEP_1) | instskip(NEXT) | instid1(VALU_DEP_1)
	v_mul_hi_u32 v2, v1, v2
	v_add_nc_u32_e32 v1, v1, v2
	s_delay_alu instid0(VALU_DEP_1) | instskip(NEXT) | instid1(VALU_DEP_1)
	v_mul_hi_u32 v1, v0, v1
	v_mul_lo_u32 v1, v1, s4
	s_delay_alu instid0(VALU_DEP_1) | instskip(NEXT) | instid1(VALU_DEP_1)
	v_sub_nc_u32_e32 v0, v0, v1
	v_subrev_nc_u32_e32 v1, s4, v0
	v_cmp_le_u32_e32 vcc_lo, s4, v0
	s_delay_alu instid0(VALU_DEP_2) | instskip(NEXT) | instid1(VALU_DEP_1)
	v_cndmask_b32_e32 v0, v0, v1, vcc_lo
	v_subrev_nc_u32_e32 v1, s4, v0
	v_cmp_le_u32_e32 vcc_lo, s4, v0
	s_delay_alu instid0(VALU_DEP_2)
	v_cndmask_b32_e32 v2, v0, v1, vcc_lo
.LBB13_5:
	s_or_b32 exec_lo, exec_lo, s2
	s_clause 0x2
	s_load_b96 s[12:14], s[0:1], 0x70
	s_load_b256 s[4:11], s[0:1], 0x18
	s_load_b64 s[16:17], s[0:1], 0x0
	s_bfe_u32 s2, ttmp6, 0x40014
	s_bfe_u32 s20, ttmp6, 0x40010
	s_lshr_b32 s18, ttmp7, 16
	s_and_b32 s19, ttmp7, 0xffff
	s_add_co_i32 s2, s2, 1
	s_add_co_i32 s20, s20, 1
	s_wait_kmcnt 0x0
	s_bfe_u32 s5, ttmp6, 0x40008
	s_bfe_u32 s21, ttmp6, 0x40004
	s_mul_i32 s2, s18, s2
	s_mul_i32 s20, s19, s20
	s_add_co_i32 s5, s5, s2
	s_add_co_i32 s21, s21, s20
	s_cmp_eq_u32 s3, 0
	s_load_b64 s[2:3], s[0:1], 0x68
	s_cselect_b32 s5, s18, s5
	s_cselect_b32 s18, s19, s21
	s_mov_b32 s15, 0
	s_add_co_i32 s14, s14, s5
	s_add_co_i32 s4, s12, s4
	s_sub_co_i32 s5, 0, s12
	s_add_co_i32 s4, s4, -1
	s_max_i32 s5, s5, 0
	v_maxmin_i32 v0, s12, v2, s4
	s_max_i32 s4, s12, 0
	s_add_co_i32 s18, s13, s18
	s_sub_co_i32 s12, s5, s4
	s_mov_b32 s19, s15
	s_mul_u64 s[4:5], s[6:7], s[14:15]
	v_add_nc_u32_e32 v4, s12, v0
	s_add_nc_u64 s[4:5], s[16:17], s[4:5]
	s_mul_u64 s[6:7], s[8:9], s[18:19]
	s_delay_alu instid0(SALU_CYCLE_1)
	s_add_nc_u64 s[4:5], s[4:5], s[6:7]
	s_delay_alu instid0(VALU_DEP_1) | instid1(SALU_CYCLE_1)
	v_mad_nc_u64_u32 v[0:1], s10, v4, s[4:5]
	s_delay_alu instid0(VALU_DEP_1) | instskip(SKIP_1) | instid1(VALU_DEP_1)
	v_mad_u32 v1, s11, v4, v1
	v_ashrrev_i32_e32 v4, 31, v4
	v_mad_u32 v1, s10, v4, v1
	global_load_u8 v4, v[0:1], off
	s_clause 0x1
	s_load_b128 s[4:7], s[0:1], 0x58
	s_load_b64 s[8:9], s[0:1], 0x38
	s_wait_kmcnt 0x0
	s_mul_u64 s[0:1], s[4:5], s[14:15]
	s_mul_u64 s[4:5], s[6:7], s[18:19]
	s_add_nc_u64 s[0:1], s[8:9], s[0:1]
	s_delay_alu instid0(SALU_CYCLE_1) | instskip(NEXT) | instid1(SALU_CYCLE_1)
	s_add_nc_u64 s[0:1], s[0:1], s[4:5]
	v_mad_nc_u64_u32 v[0:1], s2, v2, s[0:1]
	s_delay_alu instid0(VALU_DEP_1) | instskip(NEXT) | instid1(VALU_DEP_1)
	v_mad_u32 v1, s3, v2, v1
	v_mad_u32 v1, s2, v3, v1
	s_wait_loadcnt 0x0
	global_store_b8 v[0:1], v4, off
.LBB13_6:
	s_endpgm
	.section	.rodata,"a",@progbits
	.p2align	6, 0x0
	.amdhsa_kernel _ZN2at6native12_GLOBAL__N_132replication_pad_forward_kernel1dIaEEvN5torch10headeronly6detail27GenericPackedTensorAccessorINS5_14TensorAccessorIN3c108ArrayRefIlEEKT_Lm2ENS4_16DefaultPtrTraitsElEENS_6detail16IndexBoundsCheckILm3ElEESC_Lm3ESD_lEENS6_INS7_ISA_SB_Lm2ESD_lEESH_SB_Lm3ESD_lEEiii
		.amdhsa_group_segment_fixed_size 0
		.amdhsa_private_segment_fixed_size 0
		.amdhsa_kernarg_size 384
		.amdhsa_user_sgpr_count 2
		.amdhsa_user_sgpr_dispatch_ptr 0
		.amdhsa_user_sgpr_queue_ptr 0
		.amdhsa_user_sgpr_kernarg_segment_ptr 1
		.amdhsa_user_sgpr_dispatch_id 0
		.amdhsa_user_sgpr_kernarg_preload_length 0
		.amdhsa_user_sgpr_kernarg_preload_offset 0
		.amdhsa_user_sgpr_private_segment_size 0
		.amdhsa_wavefront_size32 1
		.amdhsa_uses_dynamic_stack 0
		.amdhsa_enable_private_segment 0
		.amdhsa_system_sgpr_workgroup_id_x 1
		.amdhsa_system_sgpr_workgroup_id_y 1
		.amdhsa_system_sgpr_workgroup_id_z 1
		.amdhsa_system_sgpr_workgroup_info 0
		.amdhsa_system_vgpr_workitem_id 0
		.amdhsa_next_free_vgpr 10
		.amdhsa_next_free_sgpr 22
		.amdhsa_named_barrier_count 0
		.amdhsa_reserve_vcc 1
		.amdhsa_float_round_mode_32 0
		.amdhsa_float_round_mode_16_64 0
		.amdhsa_float_denorm_mode_32 3
		.amdhsa_float_denorm_mode_16_64 3
		.amdhsa_fp16_overflow 0
		.amdhsa_memory_ordered 1
		.amdhsa_forward_progress 1
		.amdhsa_inst_pref_size 9
		.amdhsa_round_robin_scheduling 0
		.amdhsa_exception_fp_ieee_invalid_op 0
		.amdhsa_exception_fp_denorm_src 0
		.amdhsa_exception_fp_ieee_div_zero 0
		.amdhsa_exception_fp_ieee_overflow 0
		.amdhsa_exception_fp_ieee_underflow 0
		.amdhsa_exception_fp_ieee_inexact 0
		.amdhsa_exception_int_div_zero 0
	.end_amdhsa_kernel
	.section	.text._ZN2at6native12_GLOBAL__N_132replication_pad_forward_kernel1dIaEEvN5torch10headeronly6detail27GenericPackedTensorAccessorINS5_14TensorAccessorIN3c108ArrayRefIlEEKT_Lm2ENS4_16DefaultPtrTraitsElEENS_6detail16IndexBoundsCheckILm3ElEESC_Lm3ESD_lEENS6_INS7_ISA_SB_Lm2ESD_lEESH_SB_Lm3ESD_lEEiii,"axG",@progbits,_ZN2at6native12_GLOBAL__N_132replication_pad_forward_kernel1dIaEEvN5torch10headeronly6detail27GenericPackedTensorAccessorINS5_14TensorAccessorIN3c108ArrayRefIlEEKT_Lm2ENS4_16DefaultPtrTraitsElEENS_6detail16IndexBoundsCheckILm3ElEESC_Lm3ESD_lEENS6_INS7_ISA_SB_Lm2ESD_lEESH_SB_Lm3ESD_lEEiii,comdat
.Lfunc_end13:
	.size	_ZN2at6native12_GLOBAL__N_132replication_pad_forward_kernel1dIaEEvN5torch10headeronly6detail27GenericPackedTensorAccessorINS5_14TensorAccessorIN3c108ArrayRefIlEEKT_Lm2ENS4_16DefaultPtrTraitsElEENS_6detail16IndexBoundsCheckILm3ElEESC_Lm3ESD_lEENS6_INS7_ISA_SB_Lm2ESD_lEESH_SB_Lm3ESD_lEEiii, .Lfunc_end13-_ZN2at6native12_GLOBAL__N_132replication_pad_forward_kernel1dIaEEvN5torch10headeronly6detail27GenericPackedTensorAccessorINS5_14TensorAccessorIN3c108ArrayRefIlEEKT_Lm2ENS4_16DefaultPtrTraitsElEENS_6detail16IndexBoundsCheckILm3ElEESC_Lm3ESD_lEENS6_INS7_ISA_SB_Lm2ESD_lEESH_SB_Lm3ESD_lEEiii
                                        ; -- End function
	.set _ZN2at6native12_GLOBAL__N_132replication_pad_forward_kernel1dIaEEvN5torch10headeronly6detail27GenericPackedTensorAccessorINS5_14TensorAccessorIN3c108ArrayRefIlEEKT_Lm2ENS4_16DefaultPtrTraitsElEENS_6detail16IndexBoundsCheckILm3ElEESC_Lm3ESD_lEENS6_INS7_ISA_SB_Lm2ESD_lEESH_SB_Lm3ESD_lEEiii.num_vgpr, 10
	.set _ZN2at6native12_GLOBAL__N_132replication_pad_forward_kernel1dIaEEvN5torch10headeronly6detail27GenericPackedTensorAccessorINS5_14TensorAccessorIN3c108ArrayRefIlEEKT_Lm2ENS4_16DefaultPtrTraitsElEENS_6detail16IndexBoundsCheckILm3ElEESC_Lm3ESD_lEENS6_INS7_ISA_SB_Lm2ESD_lEESH_SB_Lm3ESD_lEEiii.num_agpr, 0
	.set _ZN2at6native12_GLOBAL__N_132replication_pad_forward_kernel1dIaEEvN5torch10headeronly6detail27GenericPackedTensorAccessorINS5_14TensorAccessorIN3c108ArrayRefIlEEKT_Lm2ENS4_16DefaultPtrTraitsElEENS_6detail16IndexBoundsCheckILm3ElEESC_Lm3ESD_lEENS6_INS7_ISA_SB_Lm2ESD_lEESH_SB_Lm3ESD_lEEiii.numbered_sgpr, 22
	.set _ZN2at6native12_GLOBAL__N_132replication_pad_forward_kernel1dIaEEvN5torch10headeronly6detail27GenericPackedTensorAccessorINS5_14TensorAccessorIN3c108ArrayRefIlEEKT_Lm2ENS4_16DefaultPtrTraitsElEENS_6detail16IndexBoundsCheckILm3ElEESC_Lm3ESD_lEENS6_INS7_ISA_SB_Lm2ESD_lEESH_SB_Lm3ESD_lEEiii.num_named_barrier, 0
	.set _ZN2at6native12_GLOBAL__N_132replication_pad_forward_kernel1dIaEEvN5torch10headeronly6detail27GenericPackedTensorAccessorINS5_14TensorAccessorIN3c108ArrayRefIlEEKT_Lm2ENS4_16DefaultPtrTraitsElEENS_6detail16IndexBoundsCheckILm3ElEESC_Lm3ESD_lEENS6_INS7_ISA_SB_Lm2ESD_lEESH_SB_Lm3ESD_lEEiii.private_seg_size, 0
	.set _ZN2at6native12_GLOBAL__N_132replication_pad_forward_kernel1dIaEEvN5torch10headeronly6detail27GenericPackedTensorAccessorINS5_14TensorAccessorIN3c108ArrayRefIlEEKT_Lm2ENS4_16DefaultPtrTraitsElEENS_6detail16IndexBoundsCheckILm3ElEESC_Lm3ESD_lEENS6_INS7_ISA_SB_Lm2ESD_lEESH_SB_Lm3ESD_lEEiii.uses_vcc, 1
	.set _ZN2at6native12_GLOBAL__N_132replication_pad_forward_kernel1dIaEEvN5torch10headeronly6detail27GenericPackedTensorAccessorINS5_14TensorAccessorIN3c108ArrayRefIlEEKT_Lm2ENS4_16DefaultPtrTraitsElEENS_6detail16IndexBoundsCheckILm3ElEESC_Lm3ESD_lEENS6_INS7_ISA_SB_Lm2ESD_lEESH_SB_Lm3ESD_lEEiii.uses_flat_scratch, 0
	.set _ZN2at6native12_GLOBAL__N_132replication_pad_forward_kernel1dIaEEvN5torch10headeronly6detail27GenericPackedTensorAccessorINS5_14TensorAccessorIN3c108ArrayRefIlEEKT_Lm2ENS4_16DefaultPtrTraitsElEENS_6detail16IndexBoundsCheckILm3ElEESC_Lm3ESD_lEENS6_INS7_ISA_SB_Lm2ESD_lEESH_SB_Lm3ESD_lEEiii.has_dyn_sized_stack, 0
	.set _ZN2at6native12_GLOBAL__N_132replication_pad_forward_kernel1dIaEEvN5torch10headeronly6detail27GenericPackedTensorAccessorINS5_14TensorAccessorIN3c108ArrayRefIlEEKT_Lm2ENS4_16DefaultPtrTraitsElEENS_6detail16IndexBoundsCheckILm3ElEESC_Lm3ESD_lEENS6_INS7_ISA_SB_Lm2ESD_lEESH_SB_Lm3ESD_lEEiii.has_recursion, 0
	.set _ZN2at6native12_GLOBAL__N_132replication_pad_forward_kernel1dIaEEvN5torch10headeronly6detail27GenericPackedTensorAccessorINS5_14TensorAccessorIN3c108ArrayRefIlEEKT_Lm2ENS4_16DefaultPtrTraitsElEENS_6detail16IndexBoundsCheckILm3ElEESC_Lm3ESD_lEENS6_INS7_ISA_SB_Lm2ESD_lEESH_SB_Lm3ESD_lEEiii.has_indirect_call, 0
	.section	.AMDGPU.csdata,"",@progbits
; Kernel info:
; codeLenInByte = 1132
; TotalNumSgprs: 24
; NumVgprs: 10
; ScratchSize: 0
; MemoryBound: 0
; FloatMode: 240
; IeeeMode: 1
; LDSByteSize: 0 bytes/workgroup (compile time only)
; SGPRBlocks: 0
; VGPRBlocks: 0
; NumSGPRsForWavesPerEU: 24
; NumVGPRsForWavesPerEU: 10
; NamedBarCnt: 0
; Occupancy: 16
; WaveLimiterHint : 1
; COMPUTE_PGM_RSRC2:SCRATCH_EN: 0
; COMPUTE_PGM_RSRC2:USER_SGPR: 2
; COMPUTE_PGM_RSRC2:TRAP_HANDLER: 0
; COMPUTE_PGM_RSRC2:TGID_X_EN: 1
; COMPUTE_PGM_RSRC2:TGID_Y_EN: 1
; COMPUTE_PGM_RSRC2:TGID_Z_EN: 1
; COMPUTE_PGM_RSRC2:TIDIG_COMP_CNT: 0
	.section	.text._ZN2at6native12_GLOBAL__N_132replication_pad_forward_kernel1dIiEEvN5torch10headeronly6detail27GenericPackedTensorAccessorINS5_14TensorAccessorIN3c108ArrayRefIlEEKT_Lm2ENS4_16DefaultPtrTraitsElEENS_6detail16IndexBoundsCheckILm3ElEESC_Lm3ESD_lEENS6_INS7_ISA_SB_Lm2ESD_lEESH_SB_Lm3ESD_lEEiii,"axG",@progbits,_ZN2at6native12_GLOBAL__N_132replication_pad_forward_kernel1dIiEEvN5torch10headeronly6detail27GenericPackedTensorAccessorINS5_14TensorAccessorIN3c108ArrayRefIlEEKT_Lm2ENS4_16DefaultPtrTraitsElEENS_6detail16IndexBoundsCheckILm3ElEESC_Lm3ESD_lEENS6_INS7_ISA_SB_Lm2ESD_lEESH_SB_Lm3ESD_lEEiii,comdat
	.globl	_ZN2at6native12_GLOBAL__N_132replication_pad_forward_kernel1dIiEEvN5torch10headeronly6detail27GenericPackedTensorAccessorINS5_14TensorAccessorIN3c108ArrayRefIlEEKT_Lm2ENS4_16DefaultPtrTraitsElEENS_6detail16IndexBoundsCheckILm3ElEESC_Lm3ESD_lEENS6_INS7_ISA_SB_Lm2ESD_lEESH_SB_Lm3ESD_lEEiii ; -- Begin function _ZN2at6native12_GLOBAL__N_132replication_pad_forward_kernel1dIiEEvN5torch10headeronly6detail27GenericPackedTensorAccessorINS5_14TensorAccessorIN3c108ArrayRefIlEEKT_Lm2ENS4_16DefaultPtrTraitsElEENS_6detail16IndexBoundsCheckILm3ElEESC_Lm3ESD_lEENS6_INS7_ISA_SB_Lm2ESD_lEESH_SB_Lm3ESD_lEEiii
	.p2align	8
	.type	_ZN2at6native12_GLOBAL__N_132replication_pad_forward_kernel1dIiEEvN5torch10headeronly6detail27GenericPackedTensorAccessorINS5_14TensorAccessorIN3c108ArrayRefIlEEKT_Lm2ENS4_16DefaultPtrTraitsElEENS_6detail16IndexBoundsCheckILm3ElEESC_Lm3ESD_lEENS6_INS7_ISA_SB_Lm2ESD_lEESH_SB_Lm3ESD_lEEiii,@function
_ZN2at6native12_GLOBAL__N_132replication_pad_forward_kernel1dIiEEvN5torch10headeronly6detail27GenericPackedTensorAccessorINS5_14TensorAccessorIN3c108ArrayRefIlEEKT_Lm2ENS4_16DefaultPtrTraitsElEENS_6detail16IndexBoundsCheckILm3ElEESC_Lm3ESD_lEENS6_INS7_ISA_SB_Lm2ESD_lEESH_SB_Lm3ESD_lEEiii: ; @_ZN2at6native12_GLOBAL__N_132replication_pad_forward_kernel1dIiEEvN5torch10headeronly6detail27GenericPackedTensorAccessorINS5_14TensorAccessorIN3c108ArrayRefIlEEKT_Lm2ENS4_16DefaultPtrTraitsElEENS_6detail16IndexBoundsCheckILm3ElEESC_Lm3ESD_lEENS6_INS7_ISA_SB_Lm2ESD_lEESH_SB_Lm3ESD_lEEiii
; %bb.0:
	s_clause 0x1
	s_load_b32 s2, s[0:1], 0x8c
	s_load_b64 s[4:5], s[0:1], 0x50
	s_bfe_u32 s3, ttmp6, 0x4000c
	v_mov_b32_e32 v2, 0
	s_add_co_i32 s7, s3, 1
	s_and_b32 s6, ttmp6, 15
	s_mul_i32 s7, ttmp9, s7
	s_getreg_b32 s3, hwreg(HW_REG_IB_STS2, 6, 4)
	v_mov_b32_e32 v1, v2
	s_add_co_i32 s6, s6, s7
	s_wait_kmcnt 0x0
	s_and_b32 s2, s2, 0xffff
	s_cmp_eq_u32 s3, 0
	s_cselect_b32 s6, ttmp9, s6
	s_delay_alu instid0(SALU_CYCLE_1) | instskip(SKIP_1) | instid1(VALU_DEP_1)
	v_mad_nc_u64_u32 v[0:1], s2, s6, v[0:1]
	s_mov_b32 s2, exec_lo
	v_cmpx_gt_i64_e64 s[4:5], v[0:1]
	s_cbranch_execz .LBB14_6
; %bb.1:
	v_or_b32_e32 v3, s5, v1
	s_delay_alu instid0(VALU_DEP_1) | instskip(SKIP_1) | instid1(SALU_CYCLE_1)
	v_cmp_ne_u64_e32 vcc_lo, 0, v[2:3]
                                        ; implicit-def: $vgpr2_vgpr3
	s_and_saveexec_b32 s2, vcc_lo
	s_xor_b32 s6, exec_lo, s2
	s_cbranch_execz .LBB14_3
; %bb.2:
	s_cvt_f32_u32 s2, s4
	s_cvt_f32_u32 s7, s5
	s_sub_nc_u64 s[10:11], 0, s[4:5]
	s_mov_b32 s15, 0
	v_dual_mov_b32 v3, 0 :: v_dual_mov_b32 v2, v0
	s_fmamk_f32 s2, s7, 0x4f800000, s2
	s_delay_alu instid0(SALU_CYCLE_3) | instskip(NEXT) | instid1(TRANS32_DEP_1)
	v_s_rcp_f32 s2, s2
	s_mul_f32 s2, s2, 0x5f7ffffc
	s_delay_alu instid0(SALU_CYCLE_3) | instskip(NEXT) | instid1(SALU_CYCLE_3)
	s_mul_f32 s7, s2, 0x2f800000
	s_trunc_f32 s7, s7
	s_delay_alu instid0(SALU_CYCLE_3) | instskip(SKIP_1) | instid1(SALU_CYCLE_2)
	s_fmamk_f32 s2, s7, 0xcf800000, s2
	s_cvt_u32_f32 s9, s7
	s_cvt_u32_f32 s8, s2
	s_delay_alu instid0(SALU_CYCLE_3) | instskip(NEXT) | instid1(SALU_CYCLE_1)
	s_mul_u64 s[12:13], s[10:11], s[8:9]
	s_mul_hi_u32 s17, s8, s13
	s_mul_i32 s16, s8, s13
	s_mul_hi_u32 s14, s8, s12
	s_mul_i32 s7, s9, s12
	s_add_nc_u64 s[16:17], s[14:15], s[16:17]
	s_mul_hi_u32 s2, s9, s12
	s_mul_hi_u32 s18, s9, s13
	s_add_co_u32 s7, s16, s7
	s_add_co_ci_u32 s14, s17, s2
	s_mul_i32 s12, s9, s13
	s_add_co_ci_u32 s13, s18, 0
	s_delay_alu instid0(SALU_CYCLE_1) | instskip(NEXT) | instid1(SALU_CYCLE_1)
	s_add_nc_u64 s[12:13], s[14:15], s[12:13]
	s_add_co_u32 s8, s8, s12
	s_cselect_b32 s2, -1, 0
	s_delay_alu instid0(SALU_CYCLE_1) | instskip(SKIP_1) | instid1(SALU_CYCLE_1)
	s_cmp_lg_u32 s2, 0
	s_add_co_ci_u32 s9, s9, s13
	s_mul_u64 s[10:11], s[10:11], s[8:9]
	s_delay_alu instid0(SALU_CYCLE_1)
	s_mul_hi_u32 s13, s8, s11
	s_mul_i32 s12, s8, s11
	s_mul_hi_u32 s14, s8, s10
	s_mul_i32 s7, s9, s10
	s_add_nc_u64 s[12:13], s[14:15], s[12:13]
	s_mul_hi_u32 s2, s9, s10
	s_mul_hi_u32 s16, s9, s11
	s_add_co_u32 s7, s12, s7
	s_add_co_ci_u32 s14, s13, s2
	s_mul_i32 s10, s9, s11
	s_add_co_ci_u32 s11, s16, 0
	s_delay_alu instid0(SALU_CYCLE_1) | instskip(NEXT) | instid1(SALU_CYCLE_1)
	s_add_nc_u64 s[10:11], s[14:15], s[10:11]
	s_add_co_u32 s2, s8, s10
	s_cselect_b32 s7, -1, 0
	s_delay_alu instid0(SALU_CYCLE_1)
	s_cmp_lg_u32 s7, 0
	s_add_co_ci_u32 s14, s9, s11
	s_mov_b64 s[8:9], 0xffffffff
	v_mul_u64_e32 v[4:5], s[14:15], v[2:3]
	v_mul_hi_u32 v2, v0, s2
	s_and_b64 s[8:9], s[2:3], s[8:9]
	s_delay_alu instid0(VALU_DEP_1) | instskip(SKIP_1) | instid1(VALU_DEP_1)
	v_add_nc_u64_e32 v[4:5], v[2:3], v[4:5]
	v_mov_b32_e32 v2, v1
	v_mul_u64_e32 v[6:7], s[8:9], v[2:3]
	v_mul_u64_e32 v[8:9], s[14:15], v[2:3]
	s_delay_alu instid0(VALU_DEP_2) | instskip(NEXT) | instid1(VALU_DEP_3)
	v_add_co_u32 v2, vcc_lo, v4, v6
	v_add_co_ci_u32_e32 v2, vcc_lo, v5, v7, vcc_lo
	s_delay_alu instid0(VALU_DEP_3) | instskip(NEXT) | instid1(VALU_DEP_1)
	v_add_co_ci_u32_e32 v9, vcc_lo, 0, v9, vcc_lo
	v_add_nc_u64_e32 v[2:3], v[2:3], v[8:9]
	s_delay_alu instid0(VALU_DEP_1) | instskip(NEXT) | instid1(VALU_DEP_1)
	v_mul_u64_e32 v[2:3], s[4:5], v[2:3]
	v_sub_nc_u32_e32 v4, v1, v3
	s_delay_alu instid0(VALU_DEP_2) | instskip(NEXT) | instid1(VALU_DEP_1)
	v_sub_co_u32 v0, vcc_lo, v0, v2
	v_sub_co_ci_u32_e64 v1, null, v1, v3, vcc_lo
	s_delay_alu instid0(VALU_DEP_3) | instskip(NEXT) | instid1(VALU_DEP_3)
	v_subrev_co_ci_u32_e64 v2, null, s5, v4, vcc_lo
	v_sub_co_u32 v3, vcc_lo, v0, s4
	v_cmp_le_u32_e64 s2, s4, v0
	s_delay_alu instid0(VALU_DEP_3) | instskip(SKIP_1) | instid1(VALU_DEP_3)
	v_subrev_co_ci_u32_e64 v4, null, 0, v2, vcc_lo
	v_subrev_co_ci_u32_e64 v2, null, s5, v2, vcc_lo
	v_cndmask_b32_e64 v5, 0, -1, s2
	v_cmp_le_u32_e64 s2, s4, v3
	v_cmp_le_u32_e32 vcc_lo, s5, v1
	s_delay_alu instid0(VALU_DEP_2) | instskip(SKIP_3) | instid1(VALU_DEP_3)
	v_cndmask_b32_e64 v6, 0, -1, s2
	v_cmp_le_u32_e64 s2, s5, v4
	v_cndmask_b32_e64 v8, 0, -1, vcc_lo
	v_cmp_eq_u32_e32 vcc_lo, s5, v4
	v_cndmask_b32_e64 v7, 0, -1, s2
	v_cmp_eq_u32_e64 s2, s5, v1
	s_delay_alu instid0(VALU_DEP_1) | instskip(SKIP_1) | instid1(VALU_DEP_1)
	v_dual_cndmask_b32 v6, v7, v6, vcc_lo :: v_dual_cndmask_b32 v5, v8, v5, s2
	v_sub_co_u32 v7, vcc_lo, v3, s4
	v_subrev_co_ci_u32_e64 v2, null, 0, v2, vcc_lo
	s_delay_alu instid0(VALU_DEP_3) | instskip(NEXT) | instid1(VALU_DEP_2)
	v_cmp_ne_u32_e32 vcc_lo, 0, v6
	v_dual_cndmask_b32 v2, v4, v2, vcc_lo :: v_dual_cndmask_b32 v4, v3, v7, vcc_lo
	v_cmp_ne_u32_e32 vcc_lo, 0, v5
	s_delay_alu instid0(VALU_DEP_2)
	v_dual_cndmask_b32 v3, v1, v2 :: v_dual_cndmask_b32 v2, v0, v4
                                        ; implicit-def: $vgpr0_vgpr1
.LBB14_3:
	s_and_not1_saveexec_b32 s2, s6
	s_cbranch_execz .LBB14_5
; %bb.4:
	v_cvt_f32_u32_e32 v1, s4
	s_sub_co_i32 s5, 0, s4
	v_mov_b32_e32 v3, 0
	s_delay_alu instid0(VALU_DEP_2) | instskip(SKIP_1) | instid1(TRANS32_DEP_1)
	v_rcp_iflag_f32_e32 v1, v1
	v_nop
	v_mul_f32_e32 v1, 0x4f7ffffe, v1
	s_delay_alu instid0(VALU_DEP_1) | instskip(NEXT) | instid1(VALU_DEP_1)
	v_cvt_u32_f32_e32 v1, v1
	v_mul_lo_u32 v2, s5, v1
	s_delay_alu instid0(VALU_DEP_1) | instskip(NEXT) | instid1(VALU_DEP_1)
	v_mul_hi_u32 v2, v1, v2
	v_add_nc_u32_e32 v1, v1, v2
	s_delay_alu instid0(VALU_DEP_1) | instskip(NEXT) | instid1(VALU_DEP_1)
	v_mul_hi_u32 v1, v0, v1
	v_mul_lo_u32 v1, v1, s4
	s_delay_alu instid0(VALU_DEP_1) | instskip(NEXT) | instid1(VALU_DEP_1)
	v_sub_nc_u32_e32 v0, v0, v1
	v_subrev_nc_u32_e32 v1, s4, v0
	v_cmp_le_u32_e32 vcc_lo, s4, v0
	s_delay_alu instid0(VALU_DEP_2) | instskip(NEXT) | instid1(VALU_DEP_1)
	v_cndmask_b32_e32 v0, v0, v1, vcc_lo
	v_subrev_nc_u32_e32 v1, s4, v0
	v_cmp_le_u32_e32 vcc_lo, s4, v0
	s_delay_alu instid0(VALU_DEP_2)
	v_cndmask_b32_e32 v2, v0, v1, vcc_lo
.LBB14_5:
	s_or_b32 exec_lo, exec_lo, s2
	s_clause 0x1
	s_load_b96 s[12:14], s[0:1], 0x70
	s_load_b256 s[4:11], s[0:1], 0x18
	s_bfe_u32 s2, ttmp6, 0x40014
	s_bfe_u32 s15, ttmp6, 0x40010
	s_wait_kmcnt 0x0
	s_lshr_b32 s5, ttmp7, 16
	s_add_co_i32 s2, s2, 1
	s_and_b32 s16, ttmp7, 0xffff
	s_add_co_i32 s15, s15, 1
	s_mul_i32 s2, s5, s2
	s_bfe_u32 s17, ttmp6, 0x40008
	s_mul_i32 s15, s16, s15
	s_bfe_u32 s18, ttmp6, 0x40004
	s_add_co_i32 s17, s17, s2
	s_add_co_i32 s18, s18, s15
	s_cmp_eq_u32 s3, 0
	s_load_b64 s[2:3], s[0:1], 0x68
	s_cselect_b32 s15, s16, s18
	s_cselect_b32 s16, s5, s17
	s_sub_co_i32 s5, 0, s12
	s_add_co_i32 s4, s12, s4
	s_max_i32 s5, s5, 0
	s_add_co_i32 s4, s4, -1
	s_delay_alu instid0(SALU_CYCLE_1)
	v_maxmin_i32 v0, s12, v2, s4
	s_max_i32 s4, s12, 0
	s_add_co_i32 s12, s13, s15
	s_sub_co_i32 s4, s5, s4
	s_delay_alu instid0(VALU_DEP_1) | instid1(SALU_CYCLE_1)
	v_add_nc_u32_e32 v0, s4, v0
	s_load_b64 s[4:5], s[0:1], 0x0
	s_delay_alu instid0(VALU_DEP_1) | instskip(NEXT) | instid1(VALU_DEP_1)
	v_ashrrev_i32_e32 v1, 31, v0
	v_mul_u64_e32 v[0:1], s[10:11], v[0:1]
	s_mov_b32 s11, 0
	s_add_co_i32 s10, s14, s16
	s_mov_b32 s13, s11
	s_mul_u64 s[6:7], s[6:7], s[10:11]
	s_mul_u64 s[8:9], s[8:9], s[12:13]
	s_lshl_b64 s[6:7], s[6:7], 2
	s_wait_kmcnt 0x0
	s_add_nc_u64 s[4:5], s[4:5], s[6:7]
	s_lshl_b64 s[6:7], s[8:9], 2
	s_delay_alu instid0(SALU_CYCLE_1)
	s_add_nc_u64 s[4:5], s[4:5], s[6:7]
	s_delay_alu instid0(VALU_DEP_1) | instid1(SALU_CYCLE_1)
	v_lshl_add_u64 v[0:1], v[0:1], 2, s[4:5]
	global_load_b32 v4, v[0:1], off
	s_wait_xcnt 0x0
	v_mul_u64_e32 v[0:1], s[2:3], v[2:3]
	s_clause 0x1
	s_load_b128 s[4:7], s[0:1], 0x58
	s_load_b64 s[2:3], s[0:1], 0x38
	s_wait_kmcnt 0x0
	s_mul_u64 s[0:1], s[4:5], s[10:11]
	s_mul_u64 s[4:5], s[6:7], s[12:13]
	s_lshl_b64 s[0:1], s[0:1], 2
	s_delay_alu instid0(SALU_CYCLE_1) | instskip(SKIP_1) | instid1(SALU_CYCLE_1)
	s_add_nc_u64 s[0:1], s[2:3], s[0:1]
	s_lshl_b64 s[2:3], s[4:5], 2
	s_add_nc_u64 s[0:1], s[0:1], s[2:3]
	s_delay_alu instid0(VALU_DEP_1) | instid1(SALU_CYCLE_1)
	v_lshl_add_u64 v[0:1], v[0:1], 2, s[0:1]
	s_wait_loadcnt 0x0
	global_store_b32 v[0:1], v4, off
.LBB14_6:
	s_endpgm
	.section	.rodata,"a",@progbits
	.p2align	6, 0x0
	.amdhsa_kernel _ZN2at6native12_GLOBAL__N_132replication_pad_forward_kernel1dIiEEvN5torch10headeronly6detail27GenericPackedTensorAccessorINS5_14TensorAccessorIN3c108ArrayRefIlEEKT_Lm2ENS4_16DefaultPtrTraitsElEENS_6detail16IndexBoundsCheckILm3ElEESC_Lm3ESD_lEENS6_INS7_ISA_SB_Lm2ESD_lEESH_SB_Lm3ESD_lEEiii
		.amdhsa_group_segment_fixed_size 0
		.amdhsa_private_segment_fixed_size 0
		.amdhsa_kernarg_size 384
		.amdhsa_user_sgpr_count 2
		.amdhsa_user_sgpr_dispatch_ptr 0
		.amdhsa_user_sgpr_queue_ptr 0
		.amdhsa_user_sgpr_kernarg_segment_ptr 1
		.amdhsa_user_sgpr_dispatch_id 0
		.amdhsa_user_sgpr_kernarg_preload_length 0
		.amdhsa_user_sgpr_kernarg_preload_offset 0
		.amdhsa_user_sgpr_private_segment_size 0
		.amdhsa_wavefront_size32 1
		.amdhsa_uses_dynamic_stack 0
		.amdhsa_enable_private_segment 0
		.amdhsa_system_sgpr_workgroup_id_x 1
		.amdhsa_system_sgpr_workgroup_id_y 1
		.amdhsa_system_sgpr_workgroup_id_z 1
		.amdhsa_system_sgpr_workgroup_info 0
		.amdhsa_system_vgpr_workitem_id 0
		.amdhsa_next_free_vgpr 10
		.amdhsa_next_free_sgpr 19
		.amdhsa_named_barrier_count 0
		.amdhsa_reserve_vcc 1
		.amdhsa_float_round_mode_32 0
		.amdhsa_float_round_mode_16_64 0
		.amdhsa_float_denorm_mode_32 3
		.amdhsa_float_denorm_mode_16_64 3
		.amdhsa_fp16_overflow 0
		.amdhsa_memory_ordered 1
		.amdhsa_forward_progress 1
		.amdhsa_inst_pref_size 9
		.amdhsa_round_robin_scheduling 0
		.amdhsa_exception_fp_ieee_invalid_op 0
		.amdhsa_exception_fp_denorm_src 0
		.amdhsa_exception_fp_ieee_div_zero 0
		.amdhsa_exception_fp_ieee_overflow 0
		.amdhsa_exception_fp_ieee_underflow 0
		.amdhsa_exception_fp_ieee_inexact 0
		.amdhsa_exception_int_div_zero 0
	.end_amdhsa_kernel
	.section	.text._ZN2at6native12_GLOBAL__N_132replication_pad_forward_kernel1dIiEEvN5torch10headeronly6detail27GenericPackedTensorAccessorINS5_14TensorAccessorIN3c108ArrayRefIlEEKT_Lm2ENS4_16DefaultPtrTraitsElEENS_6detail16IndexBoundsCheckILm3ElEESC_Lm3ESD_lEENS6_INS7_ISA_SB_Lm2ESD_lEESH_SB_Lm3ESD_lEEiii,"axG",@progbits,_ZN2at6native12_GLOBAL__N_132replication_pad_forward_kernel1dIiEEvN5torch10headeronly6detail27GenericPackedTensorAccessorINS5_14TensorAccessorIN3c108ArrayRefIlEEKT_Lm2ENS4_16DefaultPtrTraitsElEENS_6detail16IndexBoundsCheckILm3ElEESC_Lm3ESD_lEENS6_INS7_ISA_SB_Lm2ESD_lEESH_SB_Lm3ESD_lEEiii,comdat
.Lfunc_end14:
	.size	_ZN2at6native12_GLOBAL__N_132replication_pad_forward_kernel1dIiEEvN5torch10headeronly6detail27GenericPackedTensorAccessorINS5_14TensorAccessorIN3c108ArrayRefIlEEKT_Lm2ENS4_16DefaultPtrTraitsElEENS_6detail16IndexBoundsCheckILm3ElEESC_Lm3ESD_lEENS6_INS7_ISA_SB_Lm2ESD_lEESH_SB_Lm3ESD_lEEiii, .Lfunc_end14-_ZN2at6native12_GLOBAL__N_132replication_pad_forward_kernel1dIiEEvN5torch10headeronly6detail27GenericPackedTensorAccessorINS5_14TensorAccessorIN3c108ArrayRefIlEEKT_Lm2ENS4_16DefaultPtrTraitsElEENS_6detail16IndexBoundsCheckILm3ElEESC_Lm3ESD_lEENS6_INS7_ISA_SB_Lm2ESD_lEESH_SB_Lm3ESD_lEEiii
                                        ; -- End function
	.set _ZN2at6native12_GLOBAL__N_132replication_pad_forward_kernel1dIiEEvN5torch10headeronly6detail27GenericPackedTensorAccessorINS5_14TensorAccessorIN3c108ArrayRefIlEEKT_Lm2ENS4_16DefaultPtrTraitsElEENS_6detail16IndexBoundsCheckILm3ElEESC_Lm3ESD_lEENS6_INS7_ISA_SB_Lm2ESD_lEESH_SB_Lm3ESD_lEEiii.num_vgpr, 10
	.set _ZN2at6native12_GLOBAL__N_132replication_pad_forward_kernel1dIiEEvN5torch10headeronly6detail27GenericPackedTensorAccessorINS5_14TensorAccessorIN3c108ArrayRefIlEEKT_Lm2ENS4_16DefaultPtrTraitsElEENS_6detail16IndexBoundsCheckILm3ElEESC_Lm3ESD_lEENS6_INS7_ISA_SB_Lm2ESD_lEESH_SB_Lm3ESD_lEEiii.num_agpr, 0
	.set _ZN2at6native12_GLOBAL__N_132replication_pad_forward_kernel1dIiEEvN5torch10headeronly6detail27GenericPackedTensorAccessorINS5_14TensorAccessorIN3c108ArrayRefIlEEKT_Lm2ENS4_16DefaultPtrTraitsElEENS_6detail16IndexBoundsCheckILm3ElEESC_Lm3ESD_lEENS6_INS7_ISA_SB_Lm2ESD_lEESH_SB_Lm3ESD_lEEiii.numbered_sgpr, 19
	.set _ZN2at6native12_GLOBAL__N_132replication_pad_forward_kernel1dIiEEvN5torch10headeronly6detail27GenericPackedTensorAccessorINS5_14TensorAccessorIN3c108ArrayRefIlEEKT_Lm2ENS4_16DefaultPtrTraitsElEENS_6detail16IndexBoundsCheckILm3ElEESC_Lm3ESD_lEENS6_INS7_ISA_SB_Lm2ESD_lEESH_SB_Lm3ESD_lEEiii.num_named_barrier, 0
	.set _ZN2at6native12_GLOBAL__N_132replication_pad_forward_kernel1dIiEEvN5torch10headeronly6detail27GenericPackedTensorAccessorINS5_14TensorAccessorIN3c108ArrayRefIlEEKT_Lm2ENS4_16DefaultPtrTraitsElEENS_6detail16IndexBoundsCheckILm3ElEESC_Lm3ESD_lEENS6_INS7_ISA_SB_Lm2ESD_lEESH_SB_Lm3ESD_lEEiii.private_seg_size, 0
	.set _ZN2at6native12_GLOBAL__N_132replication_pad_forward_kernel1dIiEEvN5torch10headeronly6detail27GenericPackedTensorAccessorINS5_14TensorAccessorIN3c108ArrayRefIlEEKT_Lm2ENS4_16DefaultPtrTraitsElEENS_6detail16IndexBoundsCheckILm3ElEESC_Lm3ESD_lEENS6_INS7_ISA_SB_Lm2ESD_lEESH_SB_Lm3ESD_lEEiii.uses_vcc, 1
	.set _ZN2at6native12_GLOBAL__N_132replication_pad_forward_kernel1dIiEEvN5torch10headeronly6detail27GenericPackedTensorAccessorINS5_14TensorAccessorIN3c108ArrayRefIlEEKT_Lm2ENS4_16DefaultPtrTraitsElEENS_6detail16IndexBoundsCheckILm3ElEESC_Lm3ESD_lEENS6_INS7_ISA_SB_Lm2ESD_lEESH_SB_Lm3ESD_lEEiii.uses_flat_scratch, 0
	.set _ZN2at6native12_GLOBAL__N_132replication_pad_forward_kernel1dIiEEvN5torch10headeronly6detail27GenericPackedTensorAccessorINS5_14TensorAccessorIN3c108ArrayRefIlEEKT_Lm2ENS4_16DefaultPtrTraitsElEENS_6detail16IndexBoundsCheckILm3ElEESC_Lm3ESD_lEENS6_INS7_ISA_SB_Lm2ESD_lEESH_SB_Lm3ESD_lEEiii.has_dyn_sized_stack, 0
	.set _ZN2at6native12_GLOBAL__N_132replication_pad_forward_kernel1dIiEEvN5torch10headeronly6detail27GenericPackedTensorAccessorINS5_14TensorAccessorIN3c108ArrayRefIlEEKT_Lm2ENS4_16DefaultPtrTraitsElEENS_6detail16IndexBoundsCheckILm3ElEESC_Lm3ESD_lEENS6_INS7_ISA_SB_Lm2ESD_lEESH_SB_Lm3ESD_lEEiii.has_recursion, 0
	.set _ZN2at6native12_GLOBAL__N_132replication_pad_forward_kernel1dIiEEvN5torch10headeronly6detail27GenericPackedTensorAccessorINS5_14TensorAccessorIN3c108ArrayRefIlEEKT_Lm2ENS4_16DefaultPtrTraitsElEENS_6detail16IndexBoundsCheckILm3ElEESC_Lm3ESD_lEENS6_INS7_ISA_SB_Lm2ESD_lEESH_SB_Lm3ESD_lEEiii.has_indirect_call, 0
	.section	.AMDGPU.csdata,"",@progbits
; Kernel info:
; codeLenInByte = 1140
; TotalNumSgprs: 21
; NumVgprs: 10
; ScratchSize: 0
; MemoryBound: 0
; FloatMode: 240
; IeeeMode: 1
; LDSByteSize: 0 bytes/workgroup (compile time only)
; SGPRBlocks: 0
; VGPRBlocks: 0
; NumSGPRsForWavesPerEU: 21
; NumVGPRsForWavesPerEU: 10
; NamedBarCnt: 0
; Occupancy: 16
; WaveLimiterHint : 1
; COMPUTE_PGM_RSRC2:SCRATCH_EN: 0
; COMPUTE_PGM_RSRC2:USER_SGPR: 2
; COMPUTE_PGM_RSRC2:TRAP_HANDLER: 0
; COMPUTE_PGM_RSRC2:TGID_X_EN: 1
; COMPUTE_PGM_RSRC2:TGID_Y_EN: 1
; COMPUTE_PGM_RSRC2:TGID_Z_EN: 1
; COMPUTE_PGM_RSRC2:TIDIG_COMP_CNT: 0
	.section	.text._ZN2at6native12_GLOBAL__N_132replication_pad_forward_kernel1dIlEEvN5torch10headeronly6detail27GenericPackedTensorAccessorINS5_14TensorAccessorIN3c108ArrayRefIlEEKT_Lm2ENS4_16DefaultPtrTraitsElEENS_6detail16IndexBoundsCheckILm3ElEESC_Lm3ESD_lEENS6_INS7_ISA_SB_Lm2ESD_lEESH_SB_Lm3ESD_lEEiii,"axG",@progbits,_ZN2at6native12_GLOBAL__N_132replication_pad_forward_kernel1dIlEEvN5torch10headeronly6detail27GenericPackedTensorAccessorINS5_14TensorAccessorIN3c108ArrayRefIlEEKT_Lm2ENS4_16DefaultPtrTraitsElEENS_6detail16IndexBoundsCheckILm3ElEESC_Lm3ESD_lEENS6_INS7_ISA_SB_Lm2ESD_lEESH_SB_Lm3ESD_lEEiii,comdat
	.globl	_ZN2at6native12_GLOBAL__N_132replication_pad_forward_kernel1dIlEEvN5torch10headeronly6detail27GenericPackedTensorAccessorINS5_14TensorAccessorIN3c108ArrayRefIlEEKT_Lm2ENS4_16DefaultPtrTraitsElEENS_6detail16IndexBoundsCheckILm3ElEESC_Lm3ESD_lEENS6_INS7_ISA_SB_Lm2ESD_lEESH_SB_Lm3ESD_lEEiii ; -- Begin function _ZN2at6native12_GLOBAL__N_132replication_pad_forward_kernel1dIlEEvN5torch10headeronly6detail27GenericPackedTensorAccessorINS5_14TensorAccessorIN3c108ArrayRefIlEEKT_Lm2ENS4_16DefaultPtrTraitsElEENS_6detail16IndexBoundsCheckILm3ElEESC_Lm3ESD_lEENS6_INS7_ISA_SB_Lm2ESD_lEESH_SB_Lm3ESD_lEEiii
	.p2align	8
	.type	_ZN2at6native12_GLOBAL__N_132replication_pad_forward_kernel1dIlEEvN5torch10headeronly6detail27GenericPackedTensorAccessorINS5_14TensorAccessorIN3c108ArrayRefIlEEKT_Lm2ENS4_16DefaultPtrTraitsElEENS_6detail16IndexBoundsCheckILm3ElEESC_Lm3ESD_lEENS6_INS7_ISA_SB_Lm2ESD_lEESH_SB_Lm3ESD_lEEiii,@function
_ZN2at6native12_GLOBAL__N_132replication_pad_forward_kernel1dIlEEvN5torch10headeronly6detail27GenericPackedTensorAccessorINS5_14TensorAccessorIN3c108ArrayRefIlEEKT_Lm2ENS4_16DefaultPtrTraitsElEENS_6detail16IndexBoundsCheckILm3ElEESC_Lm3ESD_lEENS6_INS7_ISA_SB_Lm2ESD_lEESH_SB_Lm3ESD_lEEiii: ; @_ZN2at6native12_GLOBAL__N_132replication_pad_forward_kernel1dIlEEvN5torch10headeronly6detail27GenericPackedTensorAccessorINS5_14TensorAccessorIN3c108ArrayRefIlEEKT_Lm2ENS4_16DefaultPtrTraitsElEENS_6detail16IndexBoundsCheckILm3ElEESC_Lm3ESD_lEENS6_INS7_ISA_SB_Lm2ESD_lEESH_SB_Lm3ESD_lEEiii
; %bb.0:
	s_clause 0x1
	s_load_b32 s2, s[0:1], 0x8c
	s_load_b64 s[4:5], s[0:1], 0x50
	s_bfe_u32 s3, ttmp6, 0x4000c
	v_mov_b32_e32 v2, 0
	s_add_co_i32 s7, s3, 1
	s_and_b32 s6, ttmp6, 15
	s_mul_i32 s7, ttmp9, s7
	s_getreg_b32 s3, hwreg(HW_REG_IB_STS2, 6, 4)
	v_mov_b32_e32 v1, v2
	s_add_co_i32 s6, s6, s7
	s_wait_kmcnt 0x0
	s_and_b32 s2, s2, 0xffff
	s_cmp_eq_u32 s3, 0
	s_cselect_b32 s6, ttmp9, s6
	s_delay_alu instid0(SALU_CYCLE_1) | instskip(SKIP_1) | instid1(VALU_DEP_1)
	v_mad_nc_u64_u32 v[0:1], s2, s6, v[0:1]
	s_mov_b32 s2, exec_lo
	v_cmpx_gt_i64_e64 s[4:5], v[0:1]
	s_cbranch_execz .LBB15_6
; %bb.1:
	v_or_b32_e32 v3, s5, v1
	s_delay_alu instid0(VALU_DEP_1) | instskip(SKIP_1) | instid1(SALU_CYCLE_1)
	v_cmp_ne_u64_e32 vcc_lo, 0, v[2:3]
                                        ; implicit-def: $vgpr2_vgpr3
	s_and_saveexec_b32 s2, vcc_lo
	s_xor_b32 s6, exec_lo, s2
	s_cbranch_execz .LBB15_3
; %bb.2:
	s_cvt_f32_u32 s2, s4
	s_cvt_f32_u32 s7, s5
	s_sub_nc_u64 s[10:11], 0, s[4:5]
	s_mov_b32 s15, 0
	v_dual_mov_b32 v3, 0 :: v_dual_mov_b32 v2, v0
	s_fmamk_f32 s2, s7, 0x4f800000, s2
	s_delay_alu instid0(SALU_CYCLE_3) | instskip(NEXT) | instid1(TRANS32_DEP_1)
	v_s_rcp_f32 s2, s2
	s_mul_f32 s2, s2, 0x5f7ffffc
	s_delay_alu instid0(SALU_CYCLE_3) | instskip(NEXT) | instid1(SALU_CYCLE_3)
	s_mul_f32 s7, s2, 0x2f800000
	s_trunc_f32 s7, s7
	s_delay_alu instid0(SALU_CYCLE_3) | instskip(SKIP_1) | instid1(SALU_CYCLE_2)
	s_fmamk_f32 s2, s7, 0xcf800000, s2
	s_cvt_u32_f32 s9, s7
	s_cvt_u32_f32 s8, s2
	s_delay_alu instid0(SALU_CYCLE_3) | instskip(NEXT) | instid1(SALU_CYCLE_1)
	s_mul_u64 s[12:13], s[10:11], s[8:9]
	s_mul_hi_u32 s17, s8, s13
	s_mul_i32 s16, s8, s13
	s_mul_hi_u32 s14, s8, s12
	s_mul_i32 s7, s9, s12
	s_add_nc_u64 s[16:17], s[14:15], s[16:17]
	s_mul_hi_u32 s2, s9, s12
	s_mul_hi_u32 s18, s9, s13
	s_add_co_u32 s7, s16, s7
	s_add_co_ci_u32 s14, s17, s2
	s_mul_i32 s12, s9, s13
	s_add_co_ci_u32 s13, s18, 0
	s_delay_alu instid0(SALU_CYCLE_1) | instskip(NEXT) | instid1(SALU_CYCLE_1)
	s_add_nc_u64 s[12:13], s[14:15], s[12:13]
	s_add_co_u32 s8, s8, s12
	s_cselect_b32 s2, -1, 0
	s_delay_alu instid0(SALU_CYCLE_1) | instskip(SKIP_1) | instid1(SALU_CYCLE_1)
	s_cmp_lg_u32 s2, 0
	s_add_co_ci_u32 s9, s9, s13
	s_mul_u64 s[10:11], s[10:11], s[8:9]
	s_delay_alu instid0(SALU_CYCLE_1)
	s_mul_hi_u32 s13, s8, s11
	s_mul_i32 s12, s8, s11
	s_mul_hi_u32 s14, s8, s10
	s_mul_i32 s7, s9, s10
	s_add_nc_u64 s[12:13], s[14:15], s[12:13]
	s_mul_hi_u32 s2, s9, s10
	s_mul_hi_u32 s16, s9, s11
	s_add_co_u32 s7, s12, s7
	s_add_co_ci_u32 s14, s13, s2
	s_mul_i32 s10, s9, s11
	s_add_co_ci_u32 s11, s16, 0
	s_delay_alu instid0(SALU_CYCLE_1) | instskip(NEXT) | instid1(SALU_CYCLE_1)
	s_add_nc_u64 s[10:11], s[14:15], s[10:11]
	s_add_co_u32 s2, s8, s10
	s_cselect_b32 s7, -1, 0
	s_delay_alu instid0(SALU_CYCLE_1)
	s_cmp_lg_u32 s7, 0
	s_add_co_ci_u32 s14, s9, s11
	s_mov_b64 s[8:9], 0xffffffff
	v_mul_u64_e32 v[4:5], s[14:15], v[2:3]
	v_mul_hi_u32 v2, v0, s2
	s_and_b64 s[8:9], s[2:3], s[8:9]
	s_delay_alu instid0(VALU_DEP_1) | instskip(SKIP_1) | instid1(VALU_DEP_1)
	v_add_nc_u64_e32 v[4:5], v[2:3], v[4:5]
	v_mov_b32_e32 v2, v1
	v_mul_u64_e32 v[6:7], s[8:9], v[2:3]
	v_mul_u64_e32 v[8:9], s[14:15], v[2:3]
	s_delay_alu instid0(VALU_DEP_2) | instskip(NEXT) | instid1(VALU_DEP_3)
	v_add_co_u32 v2, vcc_lo, v4, v6
	v_add_co_ci_u32_e32 v2, vcc_lo, v5, v7, vcc_lo
	s_delay_alu instid0(VALU_DEP_3) | instskip(NEXT) | instid1(VALU_DEP_1)
	v_add_co_ci_u32_e32 v9, vcc_lo, 0, v9, vcc_lo
	v_add_nc_u64_e32 v[2:3], v[2:3], v[8:9]
	s_delay_alu instid0(VALU_DEP_1) | instskip(NEXT) | instid1(VALU_DEP_1)
	v_mul_u64_e32 v[2:3], s[4:5], v[2:3]
	v_sub_nc_u32_e32 v4, v1, v3
	s_delay_alu instid0(VALU_DEP_2) | instskip(NEXT) | instid1(VALU_DEP_1)
	v_sub_co_u32 v0, vcc_lo, v0, v2
	v_sub_co_ci_u32_e64 v1, null, v1, v3, vcc_lo
	s_delay_alu instid0(VALU_DEP_3) | instskip(NEXT) | instid1(VALU_DEP_3)
	v_subrev_co_ci_u32_e64 v2, null, s5, v4, vcc_lo
	v_sub_co_u32 v3, vcc_lo, v0, s4
	v_cmp_le_u32_e64 s2, s4, v0
	s_delay_alu instid0(VALU_DEP_3) | instskip(SKIP_1) | instid1(VALU_DEP_3)
	v_subrev_co_ci_u32_e64 v4, null, 0, v2, vcc_lo
	v_subrev_co_ci_u32_e64 v2, null, s5, v2, vcc_lo
	v_cndmask_b32_e64 v5, 0, -1, s2
	v_cmp_le_u32_e64 s2, s4, v3
	v_cmp_le_u32_e32 vcc_lo, s5, v1
	s_delay_alu instid0(VALU_DEP_2) | instskip(SKIP_3) | instid1(VALU_DEP_3)
	v_cndmask_b32_e64 v6, 0, -1, s2
	v_cmp_le_u32_e64 s2, s5, v4
	v_cndmask_b32_e64 v8, 0, -1, vcc_lo
	v_cmp_eq_u32_e32 vcc_lo, s5, v4
	v_cndmask_b32_e64 v7, 0, -1, s2
	v_cmp_eq_u32_e64 s2, s5, v1
	s_delay_alu instid0(VALU_DEP_1) | instskip(SKIP_1) | instid1(VALU_DEP_1)
	v_dual_cndmask_b32 v6, v7, v6, vcc_lo :: v_dual_cndmask_b32 v5, v8, v5, s2
	v_sub_co_u32 v7, vcc_lo, v3, s4
	v_subrev_co_ci_u32_e64 v2, null, 0, v2, vcc_lo
	s_delay_alu instid0(VALU_DEP_3) | instskip(NEXT) | instid1(VALU_DEP_2)
	v_cmp_ne_u32_e32 vcc_lo, 0, v6
	v_dual_cndmask_b32 v2, v4, v2, vcc_lo :: v_dual_cndmask_b32 v4, v3, v7, vcc_lo
	v_cmp_ne_u32_e32 vcc_lo, 0, v5
	s_delay_alu instid0(VALU_DEP_2)
	v_dual_cndmask_b32 v3, v1, v2 :: v_dual_cndmask_b32 v2, v0, v4
                                        ; implicit-def: $vgpr0_vgpr1
.LBB15_3:
	s_and_not1_saveexec_b32 s2, s6
	s_cbranch_execz .LBB15_5
; %bb.4:
	v_cvt_f32_u32_e32 v1, s4
	s_sub_co_i32 s5, 0, s4
	v_mov_b32_e32 v3, 0
	s_delay_alu instid0(VALU_DEP_2) | instskip(SKIP_1) | instid1(TRANS32_DEP_1)
	v_rcp_iflag_f32_e32 v1, v1
	v_nop
	v_mul_f32_e32 v1, 0x4f7ffffe, v1
	s_delay_alu instid0(VALU_DEP_1) | instskip(NEXT) | instid1(VALU_DEP_1)
	v_cvt_u32_f32_e32 v1, v1
	v_mul_lo_u32 v2, s5, v1
	s_delay_alu instid0(VALU_DEP_1) | instskip(NEXT) | instid1(VALU_DEP_1)
	v_mul_hi_u32 v2, v1, v2
	v_add_nc_u32_e32 v1, v1, v2
	s_delay_alu instid0(VALU_DEP_1) | instskip(NEXT) | instid1(VALU_DEP_1)
	v_mul_hi_u32 v1, v0, v1
	v_mul_lo_u32 v1, v1, s4
	s_delay_alu instid0(VALU_DEP_1) | instskip(NEXT) | instid1(VALU_DEP_1)
	v_sub_nc_u32_e32 v0, v0, v1
	v_subrev_nc_u32_e32 v1, s4, v0
	v_cmp_le_u32_e32 vcc_lo, s4, v0
	s_delay_alu instid0(VALU_DEP_2) | instskip(NEXT) | instid1(VALU_DEP_1)
	v_cndmask_b32_e32 v0, v0, v1, vcc_lo
	v_subrev_nc_u32_e32 v1, s4, v0
	v_cmp_le_u32_e32 vcc_lo, s4, v0
	s_delay_alu instid0(VALU_DEP_2)
	v_cndmask_b32_e32 v2, v0, v1, vcc_lo
.LBB15_5:
	s_or_b32 exec_lo, exec_lo, s2
	s_clause 0x1
	s_load_b96 s[12:14], s[0:1], 0x70
	s_load_b256 s[4:11], s[0:1], 0x18
	s_bfe_u32 s2, ttmp6, 0x40014
	s_bfe_u32 s15, ttmp6, 0x40010
	s_wait_kmcnt 0x0
	s_lshr_b32 s5, ttmp7, 16
	s_add_co_i32 s2, s2, 1
	s_and_b32 s16, ttmp7, 0xffff
	s_add_co_i32 s15, s15, 1
	s_mul_i32 s2, s5, s2
	s_bfe_u32 s17, ttmp6, 0x40008
	s_mul_i32 s15, s16, s15
	s_bfe_u32 s18, ttmp6, 0x40004
	s_add_co_i32 s17, s17, s2
	s_add_co_i32 s18, s18, s15
	s_cmp_eq_u32 s3, 0
	s_load_b64 s[2:3], s[0:1], 0x68
	s_cselect_b32 s15, s16, s18
	s_cselect_b32 s16, s5, s17
	s_sub_co_i32 s5, 0, s12
	s_add_co_i32 s4, s12, s4
	s_max_i32 s5, s5, 0
	s_add_co_i32 s4, s4, -1
	s_delay_alu instid0(SALU_CYCLE_1)
	v_maxmin_i32 v0, s12, v2, s4
	s_max_i32 s4, s12, 0
	s_add_co_i32 s12, s13, s15
	s_sub_co_i32 s4, s5, s4
	s_delay_alu instid0(VALU_DEP_1) | instid1(SALU_CYCLE_1)
	v_add_nc_u32_e32 v0, s4, v0
	s_load_b64 s[4:5], s[0:1], 0x0
	s_wait_kmcnt 0x0
	v_mul_u64_e32 v[2:3], s[2:3], v[2:3]
	s_delay_alu instid0(VALU_DEP_2) | instskip(NEXT) | instid1(VALU_DEP_1)
	v_ashrrev_i32_e32 v1, 31, v0
	v_mul_u64_e32 v[0:1], s[10:11], v[0:1]
	s_mov_b32 s11, 0
	s_add_co_i32 s10, s14, s16
	s_mov_b32 s13, s11
	s_mul_u64 s[6:7], s[6:7], s[10:11]
	s_mul_u64 s[8:9], s[8:9], s[12:13]
	s_lshl_b64 s[6:7], s[6:7], 3
	s_delay_alu instid0(SALU_CYCLE_1) | instskip(SKIP_1) | instid1(SALU_CYCLE_1)
	s_add_nc_u64 s[4:5], s[4:5], s[6:7]
	s_lshl_b64 s[6:7], s[8:9], 3
	s_add_nc_u64 s[4:5], s[4:5], s[6:7]
	s_delay_alu instid0(VALU_DEP_1) | instid1(SALU_CYCLE_1)
	v_lshl_add_u64 v[0:1], v[0:1], 3, s[4:5]
	global_load_b64 v[0:1], v[0:1], off
	s_clause 0x1
	s_load_b128 s[4:7], s[0:1], 0x58
	s_load_b64 s[2:3], s[0:1], 0x38
	s_wait_kmcnt 0x0
	s_mul_u64 s[0:1], s[4:5], s[10:11]
	s_mul_u64 s[4:5], s[6:7], s[12:13]
	s_lshl_b64 s[0:1], s[0:1], 3
	s_delay_alu instid0(SALU_CYCLE_1) | instskip(SKIP_1) | instid1(SALU_CYCLE_1)
	s_add_nc_u64 s[0:1], s[2:3], s[0:1]
	s_lshl_b64 s[2:3], s[4:5], 3
	s_add_nc_u64 s[0:1], s[0:1], s[2:3]
	s_delay_alu instid0(SALU_CYCLE_1)
	v_lshl_add_u64 v[2:3], v[2:3], 3, s[0:1]
	s_wait_loadcnt 0x0
	global_store_b64 v[2:3], v[0:1], off
.LBB15_6:
	s_endpgm
	.section	.rodata,"a",@progbits
	.p2align	6, 0x0
	.amdhsa_kernel _ZN2at6native12_GLOBAL__N_132replication_pad_forward_kernel1dIlEEvN5torch10headeronly6detail27GenericPackedTensorAccessorINS5_14TensorAccessorIN3c108ArrayRefIlEEKT_Lm2ENS4_16DefaultPtrTraitsElEENS_6detail16IndexBoundsCheckILm3ElEESC_Lm3ESD_lEENS6_INS7_ISA_SB_Lm2ESD_lEESH_SB_Lm3ESD_lEEiii
		.amdhsa_group_segment_fixed_size 0
		.amdhsa_private_segment_fixed_size 0
		.amdhsa_kernarg_size 384
		.amdhsa_user_sgpr_count 2
		.amdhsa_user_sgpr_dispatch_ptr 0
		.amdhsa_user_sgpr_queue_ptr 0
		.amdhsa_user_sgpr_kernarg_segment_ptr 1
		.amdhsa_user_sgpr_dispatch_id 0
		.amdhsa_user_sgpr_kernarg_preload_length 0
		.amdhsa_user_sgpr_kernarg_preload_offset 0
		.amdhsa_user_sgpr_private_segment_size 0
		.amdhsa_wavefront_size32 1
		.amdhsa_uses_dynamic_stack 0
		.amdhsa_enable_private_segment 0
		.amdhsa_system_sgpr_workgroup_id_x 1
		.amdhsa_system_sgpr_workgroup_id_y 1
		.amdhsa_system_sgpr_workgroup_id_z 1
		.amdhsa_system_sgpr_workgroup_info 0
		.amdhsa_system_vgpr_workitem_id 0
		.amdhsa_next_free_vgpr 10
		.amdhsa_next_free_sgpr 19
		.amdhsa_named_barrier_count 0
		.amdhsa_reserve_vcc 1
		.amdhsa_float_round_mode_32 0
		.amdhsa_float_round_mode_16_64 0
		.amdhsa_float_denorm_mode_32 3
		.amdhsa_float_denorm_mode_16_64 3
		.amdhsa_fp16_overflow 0
		.amdhsa_memory_ordered 1
		.amdhsa_forward_progress 1
		.amdhsa_inst_pref_size 9
		.amdhsa_round_robin_scheduling 0
		.amdhsa_exception_fp_ieee_invalid_op 0
		.amdhsa_exception_fp_denorm_src 0
		.amdhsa_exception_fp_ieee_div_zero 0
		.amdhsa_exception_fp_ieee_overflow 0
		.amdhsa_exception_fp_ieee_underflow 0
		.amdhsa_exception_fp_ieee_inexact 0
		.amdhsa_exception_int_div_zero 0
	.end_amdhsa_kernel
	.section	.text._ZN2at6native12_GLOBAL__N_132replication_pad_forward_kernel1dIlEEvN5torch10headeronly6detail27GenericPackedTensorAccessorINS5_14TensorAccessorIN3c108ArrayRefIlEEKT_Lm2ENS4_16DefaultPtrTraitsElEENS_6detail16IndexBoundsCheckILm3ElEESC_Lm3ESD_lEENS6_INS7_ISA_SB_Lm2ESD_lEESH_SB_Lm3ESD_lEEiii,"axG",@progbits,_ZN2at6native12_GLOBAL__N_132replication_pad_forward_kernel1dIlEEvN5torch10headeronly6detail27GenericPackedTensorAccessorINS5_14TensorAccessorIN3c108ArrayRefIlEEKT_Lm2ENS4_16DefaultPtrTraitsElEENS_6detail16IndexBoundsCheckILm3ElEESC_Lm3ESD_lEENS6_INS7_ISA_SB_Lm2ESD_lEESH_SB_Lm3ESD_lEEiii,comdat
.Lfunc_end15:
	.size	_ZN2at6native12_GLOBAL__N_132replication_pad_forward_kernel1dIlEEvN5torch10headeronly6detail27GenericPackedTensorAccessorINS5_14TensorAccessorIN3c108ArrayRefIlEEKT_Lm2ENS4_16DefaultPtrTraitsElEENS_6detail16IndexBoundsCheckILm3ElEESC_Lm3ESD_lEENS6_INS7_ISA_SB_Lm2ESD_lEESH_SB_Lm3ESD_lEEiii, .Lfunc_end15-_ZN2at6native12_GLOBAL__N_132replication_pad_forward_kernel1dIlEEvN5torch10headeronly6detail27GenericPackedTensorAccessorINS5_14TensorAccessorIN3c108ArrayRefIlEEKT_Lm2ENS4_16DefaultPtrTraitsElEENS_6detail16IndexBoundsCheckILm3ElEESC_Lm3ESD_lEENS6_INS7_ISA_SB_Lm2ESD_lEESH_SB_Lm3ESD_lEEiii
                                        ; -- End function
	.set _ZN2at6native12_GLOBAL__N_132replication_pad_forward_kernel1dIlEEvN5torch10headeronly6detail27GenericPackedTensorAccessorINS5_14TensorAccessorIN3c108ArrayRefIlEEKT_Lm2ENS4_16DefaultPtrTraitsElEENS_6detail16IndexBoundsCheckILm3ElEESC_Lm3ESD_lEENS6_INS7_ISA_SB_Lm2ESD_lEESH_SB_Lm3ESD_lEEiii.num_vgpr, 10
	.set _ZN2at6native12_GLOBAL__N_132replication_pad_forward_kernel1dIlEEvN5torch10headeronly6detail27GenericPackedTensorAccessorINS5_14TensorAccessorIN3c108ArrayRefIlEEKT_Lm2ENS4_16DefaultPtrTraitsElEENS_6detail16IndexBoundsCheckILm3ElEESC_Lm3ESD_lEENS6_INS7_ISA_SB_Lm2ESD_lEESH_SB_Lm3ESD_lEEiii.num_agpr, 0
	.set _ZN2at6native12_GLOBAL__N_132replication_pad_forward_kernel1dIlEEvN5torch10headeronly6detail27GenericPackedTensorAccessorINS5_14TensorAccessorIN3c108ArrayRefIlEEKT_Lm2ENS4_16DefaultPtrTraitsElEENS_6detail16IndexBoundsCheckILm3ElEESC_Lm3ESD_lEENS6_INS7_ISA_SB_Lm2ESD_lEESH_SB_Lm3ESD_lEEiii.numbered_sgpr, 19
	.set _ZN2at6native12_GLOBAL__N_132replication_pad_forward_kernel1dIlEEvN5torch10headeronly6detail27GenericPackedTensorAccessorINS5_14TensorAccessorIN3c108ArrayRefIlEEKT_Lm2ENS4_16DefaultPtrTraitsElEENS_6detail16IndexBoundsCheckILm3ElEESC_Lm3ESD_lEENS6_INS7_ISA_SB_Lm2ESD_lEESH_SB_Lm3ESD_lEEiii.num_named_barrier, 0
	.set _ZN2at6native12_GLOBAL__N_132replication_pad_forward_kernel1dIlEEvN5torch10headeronly6detail27GenericPackedTensorAccessorINS5_14TensorAccessorIN3c108ArrayRefIlEEKT_Lm2ENS4_16DefaultPtrTraitsElEENS_6detail16IndexBoundsCheckILm3ElEESC_Lm3ESD_lEENS6_INS7_ISA_SB_Lm2ESD_lEESH_SB_Lm3ESD_lEEiii.private_seg_size, 0
	.set _ZN2at6native12_GLOBAL__N_132replication_pad_forward_kernel1dIlEEvN5torch10headeronly6detail27GenericPackedTensorAccessorINS5_14TensorAccessorIN3c108ArrayRefIlEEKT_Lm2ENS4_16DefaultPtrTraitsElEENS_6detail16IndexBoundsCheckILm3ElEESC_Lm3ESD_lEENS6_INS7_ISA_SB_Lm2ESD_lEESH_SB_Lm3ESD_lEEiii.uses_vcc, 1
	.set _ZN2at6native12_GLOBAL__N_132replication_pad_forward_kernel1dIlEEvN5torch10headeronly6detail27GenericPackedTensorAccessorINS5_14TensorAccessorIN3c108ArrayRefIlEEKT_Lm2ENS4_16DefaultPtrTraitsElEENS_6detail16IndexBoundsCheckILm3ElEESC_Lm3ESD_lEENS6_INS7_ISA_SB_Lm2ESD_lEESH_SB_Lm3ESD_lEEiii.uses_flat_scratch, 0
	.set _ZN2at6native12_GLOBAL__N_132replication_pad_forward_kernel1dIlEEvN5torch10headeronly6detail27GenericPackedTensorAccessorINS5_14TensorAccessorIN3c108ArrayRefIlEEKT_Lm2ENS4_16DefaultPtrTraitsElEENS_6detail16IndexBoundsCheckILm3ElEESC_Lm3ESD_lEENS6_INS7_ISA_SB_Lm2ESD_lEESH_SB_Lm3ESD_lEEiii.has_dyn_sized_stack, 0
	.set _ZN2at6native12_GLOBAL__N_132replication_pad_forward_kernel1dIlEEvN5torch10headeronly6detail27GenericPackedTensorAccessorINS5_14TensorAccessorIN3c108ArrayRefIlEEKT_Lm2ENS4_16DefaultPtrTraitsElEENS_6detail16IndexBoundsCheckILm3ElEESC_Lm3ESD_lEENS6_INS7_ISA_SB_Lm2ESD_lEESH_SB_Lm3ESD_lEEiii.has_recursion, 0
	.set _ZN2at6native12_GLOBAL__N_132replication_pad_forward_kernel1dIlEEvN5torch10headeronly6detail27GenericPackedTensorAccessorINS5_14TensorAccessorIN3c108ArrayRefIlEEKT_Lm2ENS4_16DefaultPtrTraitsElEENS_6detail16IndexBoundsCheckILm3ElEESC_Lm3ESD_lEENS6_INS7_ISA_SB_Lm2ESD_lEESH_SB_Lm3ESD_lEEiii.has_indirect_call, 0
	.section	.AMDGPU.csdata,"",@progbits
; Kernel info:
; codeLenInByte = 1136
; TotalNumSgprs: 21
; NumVgprs: 10
; ScratchSize: 0
; MemoryBound: 0
; FloatMode: 240
; IeeeMode: 1
; LDSByteSize: 0 bytes/workgroup (compile time only)
; SGPRBlocks: 0
; VGPRBlocks: 0
; NumSGPRsForWavesPerEU: 21
; NumVGPRsForWavesPerEU: 10
; NamedBarCnt: 0
; Occupancy: 16
; WaveLimiterHint : 1
; COMPUTE_PGM_RSRC2:SCRATCH_EN: 0
; COMPUTE_PGM_RSRC2:USER_SGPR: 2
; COMPUTE_PGM_RSRC2:TRAP_HANDLER: 0
; COMPUTE_PGM_RSRC2:TGID_X_EN: 1
; COMPUTE_PGM_RSRC2:TGID_Y_EN: 1
; COMPUTE_PGM_RSRC2:TGID_Z_EN: 1
; COMPUTE_PGM_RSRC2:TIDIG_COMP_CNT: 0
	.section	.text._ZN2at6native12_GLOBAL__N_132replication_pad_forward_kernel1dIsEEvN5torch10headeronly6detail27GenericPackedTensorAccessorINS5_14TensorAccessorIN3c108ArrayRefIlEEKT_Lm2ENS4_16DefaultPtrTraitsElEENS_6detail16IndexBoundsCheckILm3ElEESC_Lm3ESD_lEENS6_INS7_ISA_SB_Lm2ESD_lEESH_SB_Lm3ESD_lEEiii,"axG",@progbits,_ZN2at6native12_GLOBAL__N_132replication_pad_forward_kernel1dIsEEvN5torch10headeronly6detail27GenericPackedTensorAccessorINS5_14TensorAccessorIN3c108ArrayRefIlEEKT_Lm2ENS4_16DefaultPtrTraitsElEENS_6detail16IndexBoundsCheckILm3ElEESC_Lm3ESD_lEENS6_INS7_ISA_SB_Lm2ESD_lEESH_SB_Lm3ESD_lEEiii,comdat
	.globl	_ZN2at6native12_GLOBAL__N_132replication_pad_forward_kernel1dIsEEvN5torch10headeronly6detail27GenericPackedTensorAccessorINS5_14TensorAccessorIN3c108ArrayRefIlEEKT_Lm2ENS4_16DefaultPtrTraitsElEENS_6detail16IndexBoundsCheckILm3ElEESC_Lm3ESD_lEENS6_INS7_ISA_SB_Lm2ESD_lEESH_SB_Lm3ESD_lEEiii ; -- Begin function _ZN2at6native12_GLOBAL__N_132replication_pad_forward_kernel1dIsEEvN5torch10headeronly6detail27GenericPackedTensorAccessorINS5_14TensorAccessorIN3c108ArrayRefIlEEKT_Lm2ENS4_16DefaultPtrTraitsElEENS_6detail16IndexBoundsCheckILm3ElEESC_Lm3ESD_lEENS6_INS7_ISA_SB_Lm2ESD_lEESH_SB_Lm3ESD_lEEiii
	.p2align	8
	.type	_ZN2at6native12_GLOBAL__N_132replication_pad_forward_kernel1dIsEEvN5torch10headeronly6detail27GenericPackedTensorAccessorINS5_14TensorAccessorIN3c108ArrayRefIlEEKT_Lm2ENS4_16DefaultPtrTraitsElEENS_6detail16IndexBoundsCheckILm3ElEESC_Lm3ESD_lEENS6_INS7_ISA_SB_Lm2ESD_lEESH_SB_Lm3ESD_lEEiii,@function
_ZN2at6native12_GLOBAL__N_132replication_pad_forward_kernel1dIsEEvN5torch10headeronly6detail27GenericPackedTensorAccessorINS5_14TensorAccessorIN3c108ArrayRefIlEEKT_Lm2ENS4_16DefaultPtrTraitsElEENS_6detail16IndexBoundsCheckILm3ElEESC_Lm3ESD_lEENS6_INS7_ISA_SB_Lm2ESD_lEESH_SB_Lm3ESD_lEEiii: ; @_ZN2at6native12_GLOBAL__N_132replication_pad_forward_kernel1dIsEEvN5torch10headeronly6detail27GenericPackedTensorAccessorINS5_14TensorAccessorIN3c108ArrayRefIlEEKT_Lm2ENS4_16DefaultPtrTraitsElEENS_6detail16IndexBoundsCheckILm3ElEESC_Lm3ESD_lEENS6_INS7_ISA_SB_Lm2ESD_lEESH_SB_Lm3ESD_lEEiii
; %bb.0:
	s_clause 0x1
	s_load_b32 s2, s[0:1], 0x8c
	s_load_b64 s[4:5], s[0:1], 0x50
	s_bfe_u32 s3, ttmp6, 0x4000c
	v_mov_b32_e32 v2, 0
	s_add_co_i32 s7, s3, 1
	s_and_b32 s6, ttmp6, 15
	s_mul_i32 s7, ttmp9, s7
	s_getreg_b32 s3, hwreg(HW_REG_IB_STS2, 6, 4)
	v_mov_b32_e32 v1, v2
	s_add_co_i32 s6, s6, s7
	s_wait_kmcnt 0x0
	s_and_b32 s2, s2, 0xffff
	s_cmp_eq_u32 s3, 0
	s_cselect_b32 s6, ttmp9, s6
	s_delay_alu instid0(SALU_CYCLE_1) | instskip(SKIP_1) | instid1(VALU_DEP_1)
	v_mad_nc_u64_u32 v[0:1], s2, s6, v[0:1]
	s_mov_b32 s2, exec_lo
	v_cmpx_gt_i64_e64 s[4:5], v[0:1]
	s_cbranch_execz .LBB16_6
; %bb.1:
	v_or_b32_e32 v3, s5, v1
	s_delay_alu instid0(VALU_DEP_1) | instskip(SKIP_1) | instid1(SALU_CYCLE_1)
	v_cmp_ne_u64_e32 vcc_lo, 0, v[2:3]
                                        ; implicit-def: $vgpr2_vgpr3
	s_and_saveexec_b32 s2, vcc_lo
	s_xor_b32 s6, exec_lo, s2
	s_cbranch_execz .LBB16_3
; %bb.2:
	s_cvt_f32_u32 s2, s4
	s_cvt_f32_u32 s7, s5
	s_sub_nc_u64 s[10:11], 0, s[4:5]
	s_mov_b32 s15, 0
	v_dual_mov_b32 v3, 0 :: v_dual_mov_b32 v2, v0
	s_fmamk_f32 s2, s7, 0x4f800000, s2
	s_delay_alu instid0(SALU_CYCLE_3) | instskip(NEXT) | instid1(TRANS32_DEP_1)
	v_s_rcp_f32 s2, s2
	s_mul_f32 s2, s2, 0x5f7ffffc
	s_delay_alu instid0(SALU_CYCLE_3) | instskip(NEXT) | instid1(SALU_CYCLE_3)
	s_mul_f32 s7, s2, 0x2f800000
	s_trunc_f32 s7, s7
	s_delay_alu instid0(SALU_CYCLE_3) | instskip(SKIP_1) | instid1(SALU_CYCLE_2)
	s_fmamk_f32 s2, s7, 0xcf800000, s2
	s_cvt_u32_f32 s9, s7
	s_cvt_u32_f32 s8, s2
	s_delay_alu instid0(SALU_CYCLE_3) | instskip(NEXT) | instid1(SALU_CYCLE_1)
	s_mul_u64 s[12:13], s[10:11], s[8:9]
	s_mul_hi_u32 s17, s8, s13
	s_mul_i32 s16, s8, s13
	s_mul_hi_u32 s14, s8, s12
	s_mul_i32 s7, s9, s12
	s_add_nc_u64 s[16:17], s[14:15], s[16:17]
	s_mul_hi_u32 s2, s9, s12
	s_mul_hi_u32 s18, s9, s13
	s_add_co_u32 s7, s16, s7
	s_add_co_ci_u32 s14, s17, s2
	s_mul_i32 s12, s9, s13
	s_add_co_ci_u32 s13, s18, 0
	s_delay_alu instid0(SALU_CYCLE_1) | instskip(NEXT) | instid1(SALU_CYCLE_1)
	s_add_nc_u64 s[12:13], s[14:15], s[12:13]
	s_add_co_u32 s8, s8, s12
	s_cselect_b32 s2, -1, 0
	s_delay_alu instid0(SALU_CYCLE_1) | instskip(SKIP_1) | instid1(SALU_CYCLE_1)
	s_cmp_lg_u32 s2, 0
	s_add_co_ci_u32 s9, s9, s13
	s_mul_u64 s[10:11], s[10:11], s[8:9]
	s_delay_alu instid0(SALU_CYCLE_1)
	s_mul_hi_u32 s13, s8, s11
	s_mul_i32 s12, s8, s11
	s_mul_hi_u32 s14, s8, s10
	s_mul_i32 s7, s9, s10
	s_add_nc_u64 s[12:13], s[14:15], s[12:13]
	s_mul_hi_u32 s2, s9, s10
	s_mul_hi_u32 s16, s9, s11
	s_add_co_u32 s7, s12, s7
	s_add_co_ci_u32 s14, s13, s2
	s_mul_i32 s10, s9, s11
	s_add_co_ci_u32 s11, s16, 0
	s_delay_alu instid0(SALU_CYCLE_1) | instskip(NEXT) | instid1(SALU_CYCLE_1)
	s_add_nc_u64 s[10:11], s[14:15], s[10:11]
	s_add_co_u32 s2, s8, s10
	s_cselect_b32 s7, -1, 0
	s_delay_alu instid0(SALU_CYCLE_1)
	s_cmp_lg_u32 s7, 0
	s_add_co_ci_u32 s14, s9, s11
	s_mov_b64 s[8:9], 0xffffffff
	v_mul_u64_e32 v[4:5], s[14:15], v[2:3]
	v_mul_hi_u32 v2, v0, s2
	s_and_b64 s[8:9], s[2:3], s[8:9]
	s_delay_alu instid0(VALU_DEP_1) | instskip(SKIP_1) | instid1(VALU_DEP_1)
	v_add_nc_u64_e32 v[4:5], v[2:3], v[4:5]
	v_mov_b32_e32 v2, v1
	v_mul_u64_e32 v[6:7], s[8:9], v[2:3]
	v_mul_u64_e32 v[8:9], s[14:15], v[2:3]
	s_delay_alu instid0(VALU_DEP_2) | instskip(NEXT) | instid1(VALU_DEP_3)
	v_add_co_u32 v2, vcc_lo, v4, v6
	v_add_co_ci_u32_e32 v2, vcc_lo, v5, v7, vcc_lo
	s_delay_alu instid0(VALU_DEP_3) | instskip(NEXT) | instid1(VALU_DEP_1)
	v_add_co_ci_u32_e32 v9, vcc_lo, 0, v9, vcc_lo
	v_add_nc_u64_e32 v[2:3], v[2:3], v[8:9]
	s_delay_alu instid0(VALU_DEP_1) | instskip(NEXT) | instid1(VALU_DEP_1)
	v_mul_u64_e32 v[2:3], s[4:5], v[2:3]
	v_sub_nc_u32_e32 v4, v1, v3
	s_delay_alu instid0(VALU_DEP_2) | instskip(NEXT) | instid1(VALU_DEP_1)
	v_sub_co_u32 v0, vcc_lo, v0, v2
	v_sub_co_ci_u32_e64 v1, null, v1, v3, vcc_lo
	s_delay_alu instid0(VALU_DEP_3) | instskip(NEXT) | instid1(VALU_DEP_3)
	v_subrev_co_ci_u32_e64 v2, null, s5, v4, vcc_lo
	v_sub_co_u32 v3, vcc_lo, v0, s4
	v_cmp_le_u32_e64 s2, s4, v0
	s_delay_alu instid0(VALU_DEP_3) | instskip(SKIP_1) | instid1(VALU_DEP_3)
	v_subrev_co_ci_u32_e64 v4, null, 0, v2, vcc_lo
	v_subrev_co_ci_u32_e64 v2, null, s5, v2, vcc_lo
	v_cndmask_b32_e64 v5, 0, -1, s2
	v_cmp_le_u32_e64 s2, s4, v3
	v_cmp_le_u32_e32 vcc_lo, s5, v1
	s_delay_alu instid0(VALU_DEP_2) | instskip(SKIP_3) | instid1(VALU_DEP_3)
	v_cndmask_b32_e64 v6, 0, -1, s2
	v_cmp_le_u32_e64 s2, s5, v4
	v_cndmask_b32_e64 v8, 0, -1, vcc_lo
	v_cmp_eq_u32_e32 vcc_lo, s5, v4
	v_cndmask_b32_e64 v7, 0, -1, s2
	v_cmp_eq_u32_e64 s2, s5, v1
	s_delay_alu instid0(VALU_DEP_1) | instskip(SKIP_1) | instid1(VALU_DEP_1)
	v_dual_cndmask_b32 v6, v7, v6, vcc_lo :: v_dual_cndmask_b32 v5, v8, v5, s2
	v_sub_co_u32 v7, vcc_lo, v3, s4
	v_subrev_co_ci_u32_e64 v2, null, 0, v2, vcc_lo
	s_delay_alu instid0(VALU_DEP_3) | instskip(NEXT) | instid1(VALU_DEP_2)
	v_cmp_ne_u32_e32 vcc_lo, 0, v6
	v_dual_cndmask_b32 v2, v4, v2, vcc_lo :: v_dual_cndmask_b32 v4, v3, v7, vcc_lo
	v_cmp_ne_u32_e32 vcc_lo, 0, v5
	s_delay_alu instid0(VALU_DEP_2)
	v_dual_cndmask_b32 v3, v1, v2 :: v_dual_cndmask_b32 v2, v0, v4
                                        ; implicit-def: $vgpr0_vgpr1
.LBB16_3:
	s_and_not1_saveexec_b32 s2, s6
	s_cbranch_execz .LBB16_5
; %bb.4:
	v_cvt_f32_u32_e32 v1, s4
	s_sub_co_i32 s5, 0, s4
	v_mov_b32_e32 v3, 0
	s_delay_alu instid0(VALU_DEP_2) | instskip(SKIP_1) | instid1(TRANS32_DEP_1)
	v_rcp_iflag_f32_e32 v1, v1
	v_nop
	v_mul_f32_e32 v1, 0x4f7ffffe, v1
	s_delay_alu instid0(VALU_DEP_1) | instskip(NEXT) | instid1(VALU_DEP_1)
	v_cvt_u32_f32_e32 v1, v1
	v_mul_lo_u32 v2, s5, v1
	s_delay_alu instid0(VALU_DEP_1) | instskip(NEXT) | instid1(VALU_DEP_1)
	v_mul_hi_u32 v2, v1, v2
	v_add_nc_u32_e32 v1, v1, v2
	s_delay_alu instid0(VALU_DEP_1) | instskip(NEXT) | instid1(VALU_DEP_1)
	v_mul_hi_u32 v1, v0, v1
	v_mul_lo_u32 v1, v1, s4
	s_delay_alu instid0(VALU_DEP_1) | instskip(NEXT) | instid1(VALU_DEP_1)
	v_sub_nc_u32_e32 v0, v0, v1
	v_subrev_nc_u32_e32 v1, s4, v0
	v_cmp_le_u32_e32 vcc_lo, s4, v0
	s_delay_alu instid0(VALU_DEP_2) | instskip(NEXT) | instid1(VALU_DEP_1)
	v_cndmask_b32_e32 v0, v0, v1, vcc_lo
	v_subrev_nc_u32_e32 v1, s4, v0
	v_cmp_le_u32_e32 vcc_lo, s4, v0
	s_delay_alu instid0(VALU_DEP_2)
	v_cndmask_b32_e32 v2, v0, v1, vcc_lo
.LBB16_5:
	s_or_b32 exec_lo, exec_lo, s2
	s_clause 0x1
	s_load_b96 s[12:14], s[0:1], 0x70
	s_load_b256 s[4:11], s[0:1], 0x18
	s_bfe_u32 s2, ttmp6, 0x40014
	s_bfe_u32 s15, ttmp6, 0x40010
	s_wait_kmcnt 0x0
	s_lshr_b32 s5, ttmp7, 16
	s_add_co_i32 s2, s2, 1
	s_and_b32 s16, ttmp7, 0xffff
	s_add_co_i32 s15, s15, 1
	s_mul_i32 s2, s5, s2
	s_bfe_u32 s17, ttmp6, 0x40008
	s_mul_i32 s15, s16, s15
	s_bfe_u32 s18, ttmp6, 0x40004
	s_add_co_i32 s17, s17, s2
	s_add_co_i32 s18, s18, s15
	s_cmp_eq_u32 s3, 0
	s_load_b64 s[2:3], s[0:1], 0x68
	s_cselect_b32 s15, s16, s18
	s_cselect_b32 s16, s5, s17
	s_sub_co_i32 s5, 0, s12
	s_add_co_i32 s4, s12, s4
	s_max_i32 s5, s5, 0
	s_add_co_i32 s4, s4, -1
	s_delay_alu instid0(SALU_CYCLE_1)
	v_maxmin_i32 v0, s12, v2, s4
	s_max_i32 s4, s12, 0
	s_add_co_i32 s12, s13, s15
	s_sub_co_i32 s4, s5, s4
	s_delay_alu instid0(VALU_DEP_1) | instid1(SALU_CYCLE_1)
	v_add_nc_u32_e32 v0, s4, v0
	s_load_b64 s[4:5], s[0:1], 0x0
	s_delay_alu instid0(VALU_DEP_1) | instskip(NEXT) | instid1(VALU_DEP_1)
	v_ashrrev_i32_e32 v1, 31, v0
	v_mul_u64_e32 v[0:1], s[10:11], v[0:1]
	s_mov_b32 s11, 0
	s_add_co_i32 s10, s14, s16
	s_mov_b32 s13, s11
	s_mul_u64 s[6:7], s[6:7], s[10:11]
	s_mul_u64 s[8:9], s[8:9], s[12:13]
	s_lshl_b64 s[6:7], s[6:7], 1
	s_wait_kmcnt 0x0
	s_add_nc_u64 s[4:5], s[4:5], s[6:7]
	s_lshl_b64 s[6:7], s[8:9], 1
	s_delay_alu instid0(SALU_CYCLE_1)
	s_add_nc_u64 s[4:5], s[4:5], s[6:7]
	s_delay_alu instid0(VALU_DEP_1) | instid1(SALU_CYCLE_1)
	v_lshl_add_u64 v[0:1], v[0:1], 1, s[4:5]
	global_load_u16 v4, v[0:1], off
	s_wait_xcnt 0x0
	v_mul_u64_e32 v[0:1], s[2:3], v[2:3]
	s_clause 0x1
	s_load_b128 s[4:7], s[0:1], 0x58
	s_load_b64 s[2:3], s[0:1], 0x38
	s_wait_kmcnt 0x0
	s_mul_u64 s[0:1], s[4:5], s[10:11]
	s_mul_u64 s[4:5], s[6:7], s[12:13]
	s_lshl_b64 s[0:1], s[0:1], 1
	s_delay_alu instid0(SALU_CYCLE_1) | instskip(SKIP_1) | instid1(SALU_CYCLE_1)
	s_add_nc_u64 s[0:1], s[2:3], s[0:1]
	s_lshl_b64 s[2:3], s[4:5], 1
	s_add_nc_u64 s[0:1], s[0:1], s[2:3]
	s_delay_alu instid0(VALU_DEP_1) | instid1(SALU_CYCLE_1)
	v_lshl_add_u64 v[0:1], v[0:1], 1, s[0:1]
	s_wait_loadcnt 0x0
	global_store_b16 v[0:1], v4, off
.LBB16_6:
	s_endpgm
	.section	.rodata,"a",@progbits
	.p2align	6, 0x0
	.amdhsa_kernel _ZN2at6native12_GLOBAL__N_132replication_pad_forward_kernel1dIsEEvN5torch10headeronly6detail27GenericPackedTensorAccessorINS5_14TensorAccessorIN3c108ArrayRefIlEEKT_Lm2ENS4_16DefaultPtrTraitsElEENS_6detail16IndexBoundsCheckILm3ElEESC_Lm3ESD_lEENS6_INS7_ISA_SB_Lm2ESD_lEESH_SB_Lm3ESD_lEEiii
		.amdhsa_group_segment_fixed_size 0
		.amdhsa_private_segment_fixed_size 0
		.amdhsa_kernarg_size 384
		.amdhsa_user_sgpr_count 2
		.amdhsa_user_sgpr_dispatch_ptr 0
		.amdhsa_user_sgpr_queue_ptr 0
		.amdhsa_user_sgpr_kernarg_segment_ptr 1
		.amdhsa_user_sgpr_dispatch_id 0
		.amdhsa_user_sgpr_kernarg_preload_length 0
		.amdhsa_user_sgpr_kernarg_preload_offset 0
		.amdhsa_user_sgpr_private_segment_size 0
		.amdhsa_wavefront_size32 1
		.amdhsa_uses_dynamic_stack 0
		.amdhsa_enable_private_segment 0
		.amdhsa_system_sgpr_workgroup_id_x 1
		.amdhsa_system_sgpr_workgroup_id_y 1
		.amdhsa_system_sgpr_workgroup_id_z 1
		.amdhsa_system_sgpr_workgroup_info 0
		.amdhsa_system_vgpr_workitem_id 0
		.amdhsa_next_free_vgpr 10
		.amdhsa_next_free_sgpr 19
		.amdhsa_named_barrier_count 0
		.amdhsa_reserve_vcc 1
		.amdhsa_float_round_mode_32 0
		.amdhsa_float_round_mode_16_64 0
		.amdhsa_float_denorm_mode_32 3
		.amdhsa_float_denorm_mode_16_64 3
		.amdhsa_fp16_overflow 0
		.amdhsa_memory_ordered 1
		.amdhsa_forward_progress 1
		.amdhsa_inst_pref_size 9
		.amdhsa_round_robin_scheduling 0
		.amdhsa_exception_fp_ieee_invalid_op 0
		.amdhsa_exception_fp_denorm_src 0
		.amdhsa_exception_fp_ieee_div_zero 0
		.amdhsa_exception_fp_ieee_overflow 0
		.amdhsa_exception_fp_ieee_underflow 0
		.amdhsa_exception_fp_ieee_inexact 0
		.amdhsa_exception_int_div_zero 0
	.end_amdhsa_kernel
	.section	.text._ZN2at6native12_GLOBAL__N_132replication_pad_forward_kernel1dIsEEvN5torch10headeronly6detail27GenericPackedTensorAccessorINS5_14TensorAccessorIN3c108ArrayRefIlEEKT_Lm2ENS4_16DefaultPtrTraitsElEENS_6detail16IndexBoundsCheckILm3ElEESC_Lm3ESD_lEENS6_INS7_ISA_SB_Lm2ESD_lEESH_SB_Lm3ESD_lEEiii,"axG",@progbits,_ZN2at6native12_GLOBAL__N_132replication_pad_forward_kernel1dIsEEvN5torch10headeronly6detail27GenericPackedTensorAccessorINS5_14TensorAccessorIN3c108ArrayRefIlEEKT_Lm2ENS4_16DefaultPtrTraitsElEENS_6detail16IndexBoundsCheckILm3ElEESC_Lm3ESD_lEENS6_INS7_ISA_SB_Lm2ESD_lEESH_SB_Lm3ESD_lEEiii,comdat
.Lfunc_end16:
	.size	_ZN2at6native12_GLOBAL__N_132replication_pad_forward_kernel1dIsEEvN5torch10headeronly6detail27GenericPackedTensorAccessorINS5_14TensorAccessorIN3c108ArrayRefIlEEKT_Lm2ENS4_16DefaultPtrTraitsElEENS_6detail16IndexBoundsCheckILm3ElEESC_Lm3ESD_lEENS6_INS7_ISA_SB_Lm2ESD_lEESH_SB_Lm3ESD_lEEiii, .Lfunc_end16-_ZN2at6native12_GLOBAL__N_132replication_pad_forward_kernel1dIsEEvN5torch10headeronly6detail27GenericPackedTensorAccessorINS5_14TensorAccessorIN3c108ArrayRefIlEEKT_Lm2ENS4_16DefaultPtrTraitsElEENS_6detail16IndexBoundsCheckILm3ElEESC_Lm3ESD_lEENS6_INS7_ISA_SB_Lm2ESD_lEESH_SB_Lm3ESD_lEEiii
                                        ; -- End function
	.set _ZN2at6native12_GLOBAL__N_132replication_pad_forward_kernel1dIsEEvN5torch10headeronly6detail27GenericPackedTensorAccessorINS5_14TensorAccessorIN3c108ArrayRefIlEEKT_Lm2ENS4_16DefaultPtrTraitsElEENS_6detail16IndexBoundsCheckILm3ElEESC_Lm3ESD_lEENS6_INS7_ISA_SB_Lm2ESD_lEESH_SB_Lm3ESD_lEEiii.num_vgpr, 10
	.set _ZN2at6native12_GLOBAL__N_132replication_pad_forward_kernel1dIsEEvN5torch10headeronly6detail27GenericPackedTensorAccessorINS5_14TensorAccessorIN3c108ArrayRefIlEEKT_Lm2ENS4_16DefaultPtrTraitsElEENS_6detail16IndexBoundsCheckILm3ElEESC_Lm3ESD_lEENS6_INS7_ISA_SB_Lm2ESD_lEESH_SB_Lm3ESD_lEEiii.num_agpr, 0
	.set _ZN2at6native12_GLOBAL__N_132replication_pad_forward_kernel1dIsEEvN5torch10headeronly6detail27GenericPackedTensorAccessorINS5_14TensorAccessorIN3c108ArrayRefIlEEKT_Lm2ENS4_16DefaultPtrTraitsElEENS_6detail16IndexBoundsCheckILm3ElEESC_Lm3ESD_lEENS6_INS7_ISA_SB_Lm2ESD_lEESH_SB_Lm3ESD_lEEiii.numbered_sgpr, 19
	.set _ZN2at6native12_GLOBAL__N_132replication_pad_forward_kernel1dIsEEvN5torch10headeronly6detail27GenericPackedTensorAccessorINS5_14TensorAccessorIN3c108ArrayRefIlEEKT_Lm2ENS4_16DefaultPtrTraitsElEENS_6detail16IndexBoundsCheckILm3ElEESC_Lm3ESD_lEENS6_INS7_ISA_SB_Lm2ESD_lEESH_SB_Lm3ESD_lEEiii.num_named_barrier, 0
	.set _ZN2at6native12_GLOBAL__N_132replication_pad_forward_kernel1dIsEEvN5torch10headeronly6detail27GenericPackedTensorAccessorINS5_14TensorAccessorIN3c108ArrayRefIlEEKT_Lm2ENS4_16DefaultPtrTraitsElEENS_6detail16IndexBoundsCheckILm3ElEESC_Lm3ESD_lEENS6_INS7_ISA_SB_Lm2ESD_lEESH_SB_Lm3ESD_lEEiii.private_seg_size, 0
	.set _ZN2at6native12_GLOBAL__N_132replication_pad_forward_kernel1dIsEEvN5torch10headeronly6detail27GenericPackedTensorAccessorINS5_14TensorAccessorIN3c108ArrayRefIlEEKT_Lm2ENS4_16DefaultPtrTraitsElEENS_6detail16IndexBoundsCheckILm3ElEESC_Lm3ESD_lEENS6_INS7_ISA_SB_Lm2ESD_lEESH_SB_Lm3ESD_lEEiii.uses_vcc, 1
	.set _ZN2at6native12_GLOBAL__N_132replication_pad_forward_kernel1dIsEEvN5torch10headeronly6detail27GenericPackedTensorAccessorINS5_14TensorAccessorIN3c108ArrayRefIlEEKT_Lm2ENS4_16DefaultPtrTraitsElEENS_6detail16IndexBoundsCheckILm3ElEESC_Lm3ESD_lEENS6_INS7_ISA_SB_Lm2ESD_lEESH_SB_Lm3ESD_lEEiii.uses_flat_scratch, 0
	.set _ZN2at6native12_GLOBAL__N_132replication_pad_forward_kernel1dIsEEvN5torch10headeronly6detail27GenericPackedTensorAccessorINS5_14TensorAccessorIN3c108ArrayRefIlEEKT_Lm2ENS4_16DefaultPtrTraitsElEENS_6detail16IndexBoundsCheckILm3ElEESC_Lm3ESD_lEENS6_INS7_ISA_SB_Lm2ESD_lEESH_SB_Lm3ESD_lEEiii.has_dyn_sized_stack, 0
	.set _ZN2at6native12_GLOBAL__N_132replication_pad_forward_kernel1dIsEEvN5torch10headeronly6detail27GenericPackedTensorAccessorINS5_14TensorAccessorIN3c108ArrayRefIlEEKT_Lm2ENS4_16DefaultPtrTraitsElEENS_6detail16IndexBoundsCheckILm3ElEESC_Lm3ESD_lEENS6_INS7_ISA_SB_Lm2ESD_lEESH_SB_Lm3ESD_lEEiii.has_recursion, 0
	.set _ZN2at6native12_GLOBAL__N_132replication_pad_forward_kernel1dIsEEvN5torch10headeronly6detail27GenericPackedTensorAccessorINS5_14TensorAccessorIN3c108ArrayRefIlEEKT_Lm2ENS4_16DefaultPtrTraitsElEENS_6detail16IndexBoundsCheckILm3ElEESC_Lm3ESD_lEENS6_INS7_ISA_SB_Lm2ESD_lEESH_SB_Lm3ESD_lEEiii.has_indirect_call, 0
	.section	.AMDGPU.csdata,"",@progbits
; Kernel info:
; codeLenInByte = 1140
; TotalNumSgprs: 21
; NumVgprs: 10
; ScratchSize: 0
; MemoryBound: 0
; FloatMode: 240
; IeeeMode: 1
; LDSByteSize: 0 bytes/workgroup (compile time only)
; SGPRBlocks: 0
; VGPRBlocks: 0
; NumSGPRsForWavesPerEU: 21
; NumVGPRsForWavesPerEU: 10
; NamedBarCnt: 0
; Occupancy: 16
; WaveLimiterHint : 1
; COMPUTE_PGM_RSRC2:SCRATCH_EN: 0
; COMPUTE_PGM_RSRC2:USER_SGPR: 2
; COMPUTE_PGM_RSRC2:TRAP_HANDLER: 0
; COMPUTE_PGM_RSRC2:TGID_X_EN: 1
; COMPUTE_PGM_RSRC2:TGID_Y_EN: 1
; COMPUTE_PGM_RSRC2:TGID_Z_EN: 1
; COMPUTE_PGM_RSRC2:TIDIG_COMP_CNT: 0
	.section	.text._ZN2at6native12_GLOBAL__N_132replication_pad_forward_kernel1dIdEEvN5torch10headeronly6detail27GenericPackedTensorAccessorINS5_14TensorAccessorIN3c108ArrayRefIlEEKT_Lm2ENS4_16DefaultPtrTraitsElEENS_6detail16IndexBoundsCheckILm3ElEESC_Lm3ESD_lEENS6_INS7_ISA_SB_Lm2ESD_lEESH_SB_Lm3ESD_lEEiii,"axG",@progbits,_ZN2at6native12_GLOBAL__N_132replication_pad_forward_kernel1dIdEEvN5torch10headeronly6detail27GenericPackedTensorAccessorINS5_14TensorAccessorIN3c108ArrayRefIlEEKT_Lm2ENS4_16DefaultPtrTraitsElEENS_6detail16IndexBoundsCheckILm3ElEESC_Lm3ESD_lEENS6_INS7_ISA_SB_Lm2ESD_lEESH_SB_Lm3ESD_lEEiii,comdat
	.globl	_ZN2at6native12_GLOBAL__N_132replication_pad_forward_kernel1dIdEEvN5torch10headeronly6detail27GenericPackedTensorAccessorINS5_14TensorAccessorIN3c108ArrayRefIlEEKT_Lm2ENS4_16DefaultPtrTraitsElEENS_6detail16IndexBoundsCheckILm3ElEESC_Lm3ESD_lEENS6_INS7_ISA_SB_Lm2ESD_lEESH_SB_Lm3ESD_lEEiii ; -- Begin function _ZN2at6native12_GLOBAL__N_132replication_pad_forward_kernel1dIdEEvN5torch10headeronly6detail27GenericPackedTensorAccessorINS5_14TensorAccessorIN3c108ArrayRefIlEEKT_Lm2ENS4_16DefaultPtrTraitsElEENS_6detail16IndexBoundsCheckILm3ElEESC_Lm3ESD_lEENS6_INS7_ISA_SB_Lm2ESD_lEESH_SB_Lm3ESD_lEEiii
	.p2align	8
	.type	_ZN2at6native12_GLOBAL__N_132replication_pad_forward_kernel1dIdEEvN5torch10headeronly6detail27GenericPackedTensorAccessorINS5_14TensorAccessorIN3c108ArrayRefIlEEKT_Lm2ENS4_16DefaultPtrTraitsElEENS_6detail16IndexBoundsCheckILm3ElEESC_Lm3ESD_lEENS6_INS7_ISA_SB_Lm2ESD_lEESH_SB_Lm3ESD_lEEiii,@function
_ZN2at6native12_GLOBAL__N_132replication_pad_forward_kernel1dIdEEvN5torch10headeronly6detail27GenericPackedTensorAccessorINS5_14TensorAccessorIN3c108ArrayRefIlEEKT_Lm2ENS4_16DefaultPtrTraitsElEENS_6detail16IndexBoundsCheckILm3ElEESC_Lm3ESD_lEENS6_INS7_ISA_SB_Lm2ESD_lEESH_SB_Lm3ESD_lEEiii: ; @_ZN2at6native12_GLOBAL__N_132replication_pad_forward_kernel1dIdEEvN5torch10headeronly6detail27GenericPackedTensorAccessorINS5_14TensorAccessorIN3c108ArrayRefIlEEKT_Lm2ENS4_16DefaultPtrTraitsElEENS_6detail16IndexBoundsCheckILm3ElEESC_Lm3ESD_lEENS6_INS7_ISA_SB_Lm2ESD_lEESH_SB_Lm3ESD_lEEiii
; %bb.0:
	s_clause 0x1
	s_load_b32 s2, s[0:1], 0x8c
	s_load_b64 s[4:5], s[0:1], 0x50
	s_bfe_u32 s3, ttmp6, 0x4000c
	v_mov_b32_e32 v2, 0
	s_add_co_i32 s7, s3, 1
	s_and_b32 s6, ttmp6, 15
	s_mul_i32 s7, ttmp9, s7
	s_getreg_b32 s3, hwreg(HW_REG_IB_STS2, 6, 4)
	v_mov_b32_e32 v1, v2
	s_add_co_i32 s6, s6, s7
	s_wait_kmcnt 0x0
	s_and_b32 s2, s2, 0xffff
	s_cmp_eq_u32 s3, 0
	s_cselect_b32 s6, ttmp9, s6
	s_delay_alu instid0(SALU_CYCLE_1) | instskip(SKIP_1) | instid1(VALU_DEP_1)
	v_mad_nc_u64_u32 v[0:1], s2, s6, v[0:1]
	s_mov_b32 s2, exec_lo
	v_cmpx_gt_i64_e64 s[4:5], v[0:1]
	s_cbranch_execz .LBB17_6
; %bb.1:
	v_or_b32_e32 v3, s5, v1
	s_delay_alu instid0(VALU_DEP_1) | instskip(SKIP_1) | instid1(SALU_CYCLE_1)
	v_cmp_ne_u64_e32 vcc_lo, 0, v[2:3]
                                        ; implicit-def: $vgpr2_vgpr3
	s_and_saveexec_b32 s2, vcc_lo
	s_xor_b32 s6, exec_lo, s2
	s_cbranch_execz .LBB17_3
; %bb.2:
	s_cvt_f32_u32 s2, s4
	s_cvt_f32_u32 s7, s5
	s_sub_nc_u64 s[10:11], 0, s[4:5]
	s_mov_b32 s15, 0
	v_dual_mov_b32 v3, 0 :: v_dual_mov_b32 v2, v0
	s_fmamk_f32 s2, s7, 0x4f800000, s2
	s_delay_alu instid0(SALU_CYCLE_3) | instskip(NEXT) | instid1(TRANS32_DEP_1)
	v_s_rcp_f32 s2, s2
	s_mul_f32 s2, s2, 0x5f7ffffc
	s_delay_alu instid0(SALU_CYCLE_3) | instskip(NEXT) | instid1(SALU_CYCLE_3)
	s_mul_f32 s7, s2, 0x2f800000
	s_trunc_f32 s7, s7
	s_delay_alu instid0(SALU_CYCLE_3) | instskip(SKIP_1) | instid1(SALU_CYCLE_2)
	s_fmamk_f32 s2, s7, 0xcf800000, s2
	s_cvt_u32_f32 s9, s7
	s_cvt_u32_f32 s8, s2
	s_delay_alu instid0(SALU_CYCLE_3) | instskip(NEXT) | instid1(SALU_CYCLE_1)
	s_mul_u64 s[12:13], s[10:11], s[8:9]
	s_mul_hi_u32 s17, s8, s13
	s_mul_i32 s16, s8, s13
	s_mul_hi_u32 s14, s8, s12
	s_mul_i32 s7, s9, s12
	s_add_nc_u64 s[16:17], s[14:15], s[16:17]
	s_mul_hi_u32 s2, s9, s12
	s_mul_hi_u32 s18, s9, s13
	s_add_co_u32 s7, s16, s7
	s_add_co_ci_u32 s14, s17, s2
	s_mul_i32 s12, s9, s13
	s_add_co_ci_u32 s13, s18, 0
	s_delay_alu instid0(SALU_CYCLE_1) | instskip(NEXT) | instid1(SALU_CYCLE_1)
	s_add_nc_u64 s[12:13], s[14:15], s[12:13]
	s_add_co_u32 s8, s8, s12
	s_cselect_b32 s2, -1, 0
	s_delay_alu instid0(SALU_CYCLE_1) | instskip(SKIP_1) | instid1(SALU_CYCLE_1)
	s_cmp_lg_u32 s2, 0
	s_add_co_ci_u32 s9, s9, s13
	s_mul_u64 s[10:11], s[10:11], s[8:9]
	s_delay_alu instid0(SALU_CYCLE_1)
	s_mul_hi_u32 s13, s8, s11
	s_mul_i32 s12, s8, s11
	s_mul_hi_u32 s14, s8, s10
	s_mul_i32 s7, s9, s10
	s_add_nc_u64 s[12:13], s[14:15], s[12:13]
	s_mul_hi_u32 s2, s9, s10
	s_mul_hi_u32 s16, s9, s11
	s_add_co_u32 s7, s12, s7
	s_add_co_ci_u32 s14, s13, s2
	s_mul_i32 s10, s9, s11
	s_add_co_ci_u32 s11, s16, 0
	s_delay_alu instid0(SALU_CYCLE_1) | instskip(NEXT) | instid1(SALU_CYCLE_1)
	s_add_nc_u64 s[10:11], s[14:15], s[10:11]
	s_add_co_u32 s2, s8, s10
	s_cselect_b32 s7, -1, 0
	s_delay_alu instid0(SALU_CYCLE_1)
	s_cmp_lg_u32 s7, 0
	s_add_co_ci_u32 s14, s9, s11
	s_mov_b64 s[8:9], 0xffffffff
	v_mul_u64_e32 v[4:5], s[14:15], v[2:3]
	v_mul_hi_u32 v2, v0, s2
	s_and_b64 s[8:9], s[2:3], s[8:9]
	s_delay_alu instid0(VALU_DEP_1) | instskip(SKIP_1) | instid1(VALU_DEP_1)
	v_add_nc_u64_e32 v[4:5], v[2:3], v[4:5]
	v_mov_b32_e32 v2, v1
	v_mul_u64_e32 v[6:7], s[8:9], v[2:3]
	v_mul_u64_e32 v[8:9], s[14:15], v[2:3]
	s_delay_alu instid0(VALU_DEP_2) | instskip(NEXT) | instid1(VALU_DEP_3)
	v_add_co_u32 v2, vcc_lo, v4, v6
	v_add_co_ci_u32_e32 v2, vcc_lo, v5, v7, vcc_lo
	s_delay_alu instid0(VALU_DEP_3) | instskip(NEXT) | instid1(VALU_DEP_1)
	v_add_co_ci_u32_e32 v9, vcc_lo, 0, v9, vcc_lo
	v_add_nc_u64_e32 v[2:3], v[2:3], v[8:9]
	s_delay_alu instid0(VALU_DEP_1) | instskip(NEXT) | instid1(VALU_DEP_1)
	v_mul_u64_e32 v[2:3], s[4:5], v[2:3]
	v_sub_nc_u32_e32 v4, v1, v3
	s_delay_alu instid0(VALU_DEP_2) | instskip(NEXT) | instid1(VALU_DEP_1)
	v_sub_co_u32 v0, vcc_lo, v0, v2
	v_sub_co_ci_u32_e64 v1, null, v1, v3, vcc_lo
	s_delay_alu instid0(VALU_DEP_3) | instskip(NEXT) | instid1(VALU_DEP_3)
	v_subrev_co_ci_u32_e64 v2, null, s5, v4, vcc_lo
	v_sub_co_u32 v3, vcc_lo, v0, s4
	v_cmp_le_u32_e64 s2, s4, v0
	s_delay_alu instid0(VALU_DEP_3) | instskip(SKIP_1) | instid1(VALU_DEP_3)
	v_subrev_co_ci_u32_e64 v4, null, 0, v2, vcc_lo
	v_subrev_co_ci_u32_e64 v2, null, s5, v2, vcc_lo
	v_cndmask_b32_e64 v5, 0, -1, s2
	v_cmp_le_u32_e64 s2, s4, v3
	v_cmp_le_u32_e32 vcc_lo, s5, v1
	s_delay_alu instid0(VALU_DEP_2) | instskip(SKIP_3) | instid1(VALU_DEP_3)
	v_cndmask_b32_e64 v6, 0, -1, s2
	v_cmp_le_u32_e64 s2, s5, v4
	v_cndmask_b32_e64 v8, 0, -1, vcc_lo
	v_cmp_eq_u32_e32 vcc_lo, s5, v4
	v_cndmask_b32_e64 v7, 0, -1, s2
	v_cmp_eq_u32_e64 s2, s5, v1
	s_delay_alu instid0(VALU_DEP_1) | instskip(SKIP_1) | instid1(VALU_DEP_1)
	v_dual_cndmask_b32 v6, v7, v6, vcc_lo :: v_dual_cndmask_b32 v5, v8, v5, s2
	v_sub_co_u32 v7, vcc_lo, v3, s4
	v_subrev_co_ci_u32_e64 v2, null, 0, v2, vcc_lo
	s_delay_alu instid0(VALU_DEP_3) | instskip(NEXT) | instid1(VALU_DEP_2)
	v_cmp_ne_u32_e32 vcc_lo, 0, v6
	v_dual_cndmask_b32 v2, v4, v2, vcc_lo :: v_dual_cndmask_b32 v4, v3, v7, vcc_lo
	v_cmp_ne_u32_e32 vcc_lo, 0, v5
	s_delay_alu instid0(VALU_DEP_2)
	v_dual_cndmask_b32 v3, v1, v2 :: v_dual_cndmask_b32 v2, v0, v4
                                        ; implicit-def: $vgpr0_vgpr1
.LBB17_3:
	s_and_not1_saveexec_b32 s2, s6
	s_cbranch_execz .LBB17_5
; %bb.4:
	v_cvt_f32_u32_e32 v1, s4
	s_sub_co_i32 s5, 0, s4
	v_mov_b32_e32 v3, 0
	s_delay_alu instid0(VALU_DEP_2) | instskip(SKIP_1) | instid1(TRANS32_DEP_1)
	v_rcp_iflag_f32_e32 v1, v1
	v_nop
	v_mul_f32_e32 v1, 0x4f7ffffe, v1
	s_delay_alu instid0(VALU_DEP_1) | instskip(NEXT) | instid1(VALU_DEP_1)
	v_cvt_u32_f32_e32 v1, v1
	v_mul_lo_u32 v2, s5, v1
	s_delay_alu instid0(VALU_DEP_1) | instskip(NEXT) | instid1(VALU_DEP_1)
	v_mul_hi_u32 v2, v1, v2
	v_add_nc_u32_e32 v1, v1, v2
	s_delay_alu instid0(VALU_DEP_1) | instskip(NEXT) | instid1(VALU_DEP_1)
	v_mul_hi_u32 v1, v0, v1
	v_mul_lo_u32 v1, v1, s4
	s_delay_alu instid0(VALU_DEP_1) | instskip(NEXT) | instid1(VALU_DEP_1)
	v_sub_nc_u32_e32 v0, v0, v1
	v_subrev_nc_u32_e32 v1, s4, v0
	v_cmp_le_u32_e32 vcc_lo, s4, v0
	s_delay_alu instid0(VALU_DEP_2) | instskip(NEXT) | instid1(VALU_DEP_1)
	v_cndmask_b32_e32 v0, v0, v1, vcc_lo
	v_subrev_nc_u32_e32 v1, s4, v0
	v_cmp_le_u32_e32 vcc_lo, s4, v0
	s_delay_alu instid0(VALU_DEP_2)
	v_cndmask_b32_e32 v2, v0, v1, vcc_lo
.LBB17_5:
	s_or_b32 exec_lo, exec_lo, s2
	s_clause 0x1
	s_load_b96 s[12:14], s[0:1], 0x70
	s_load_b256 s[4:11], s[0:1], 0x18
	s_bfe_u32 s2, ttmp6, 0x40014
	s_bfe_u32 s15, ttmp6, 0x40010
	s_wait_kmcnt 0x0
	s_lshr_b32 s5, ttmp7, 16
	s_add_co_i32 s2, s2, 1
	s_and_b32 s16, ttmp7, 0xffff
	s_add_co_i32 s15, s15, 1
	s_mul_i32 s2, s5, s2
	s_bfe_u32 s17, ttmp6, 0x40008
	s_mul_i32 s15, s16, s15
	s_bfe_u32 s18, ttmp6, 0x40004
	s_add_co_i32 s17, s17, s2
	s_add_co_i32 s18, s18, s15
	s_cmp_eq_u32 s3, 0
	s_load_b64 s[2:3], s[0:1], 0x68
	s_cselect_b32 s15, s16, s18
	s_cselect_b32 s16, s5, s17
	s_sub_co_i32 s5, 0, s12
	s_add_co_i32 s4, s12, s4
	s_max_i32 s5, s5, 0
	s_add_co_i32 s4, s4, -1
	s_delay_alu instid0(SALU_CYCLE_1)
	v_maxmin_i32 v0, s12, v2, s4
	s_max_i32 s4, s12, 0
	s_add_co_i32 s12, s13, s15
	s_sub_co_i32 s4, s5, s4
	s_delay_alu instid0(VALU_DEP_1) | instid1(SALU_CYCLE_1)
	v_add_nc_u32_e32 v0, s4, v0
	s_load_b64 s[4:5], s[0:1], 0x0
	s_wait_kmcnt 0x0
	v_mul_u64_e32 v[2:3], s[2:3], v[2:3]
	s_delay_alu instid0(VALU_DEP_2) | instskip(NEXT) | instid1(VALU_DEP_1)
	v_ashrrev_i32_e32 v1, 31, v0
	v_mul_u64_e32 v[0:1], s[10:11], v[0:1]
	s_mov_b32 s11, 0
	s_add_co_i32 s10, s14, s16
	s_mov_b32 s13, s11
	s_mul_u64 s[6:7], s[6:7], s[10:11]
	s_mul_u64 s[8:9], s[8:9], s[12:13]
	s_lshl_b64 s[6:7], s[6:7], 3
	s_delay_alu instid0(SALU_CYCLE_1) | instskip(SKIP_1) | instid1(SALU_CYCLE_1)
	s_add_nc_u64 s[4:5], s[4:5], s[6:7]
	s_lshl_b64 s[6:7], s[8:9], 3
	s_add_nc_u64 s[4:5], s[4:5], s[6:7]
	s_delay_alu instid0(VALU_DEP_1) | instid1(SALU_CYCLE_1)
	v_lshl_add_u64 v[0:1], v[0:1], 3, s[4:5]
	global_load_b64 v[0:1], v[0:1], off
	s_clause 0x1
	s_load_b128 s[4:7], s[0:1], 0x58
	s_load_b64 s[2:3], s[0:1], 0x38
	s_wait_kmcnt 0x0
	s_mul_u64 s[0:1], s[4:5], s[10:11]
	s_mul_u64 s[4:5], s[6:7], s[12:13]
	s_lshl_b64 s[0:1], s[0:1], 3
	s_delay_alu instid0(SALU_CYCLE_1) | instskip(SKIP_1) | instid1(SALU_CYCLE_1)
	s_add_nc_u64 s[0:1], s[2:3], s[0:1]
	s_lshl_b64 s[2:3], s[4:5], 3
	s_add_nc_u64 s[0:1], s[0:1], s[2:3]
	s_delay_alu instid0(SALU_CYCLE_1)
	v_lshl_add_u64 v[2:3], v[2:3], 3, s[0:1]
	s_wait_loadcnt 0x0
	global_store_b64 v[2:3], v[0:1], off
.LBB17_6:
	s_endpgm
	.section	.rodata,"a",@progbits
	.p2align	6, 0x0
	.amdhsa_kernel _ZN2at6native12_GLOBAL__N_132replication_pad_forward_kernel1dIdEEvN5torch10headeronly6detail27GenericPackedTensorAccessorINS5_14TensorAccessorIN3c108ArrayRefIlEEKT_Lm2ENS4_16DefaultPtrTraitsElEENS_6detail16IndexBoundsCheckILm3ElEESC_Lm3ESD_lEENS6_INS7_ISA_SB_Lm2ESD_lEESH_SB_Lm3ESD_lEEiii
		.amdhsa_group_segment_fixed_size 0
		.amdhsa_private_segment_fixed_size 0
		.amdhsa_kernarg_size 384
		.amdhsa_user_sgpr_count 2
		.amdhsa_user_sgpr_dispatch_ptr 0
		.amdhsa_user_sgpr_queue_ptr 0
		.amdhsa_user_sgpr_kernarg_segment_ptr 1
		.amdhsa_user_sgpr_dispatch_id 0
		.amdhsa_user_sgpr_kernarg_preload_length 0
		.amdhsa_user_sgpr_kernarg_preload_offset 0
		.amdhsa_user_sgpr_private_segment_size 0
		.amdhsa_wavefront_size32 1
		.amdhsa_uses_dynamic_stack 0
		.amdhsa_enable_private_segment 0
		.amdhsa_system_sgpr_workgroup_id_x 1
		.amdhsa_system_sgpr_workgroup_id_y 1
		.amdhsa_system_sgpr_workgroup_id_z 1
		.amdhsa_system_sgpr_workgroup_info 0
		.amdhsa_system_vgpr_workitem_id 0
		.amdhsa_next_free_vgpr 10
		.amdhsa_next_free_sgpr 19
		.amdhsa_named_barrier_count 0
		.amdhsa_reserve_vcc 1
		.amdhsa_float_round_mode_32 0
		.amdhsa_float_round_mode_16_64 0
		.amdhsa_float_denorm_mode_32 3
		.amdhsa_float_denorm_mode_16_64 3
		.amdhsa_fp16_overflow 0
		.amdhsa_memory_ordered 1
		.amdhsa_forward_progress 1
		.amdhsa_inst_pref_size 9
		.amdhsa_round_robin_scheduling 0
		.amdhsa_exception_fp_ieee_invalid_op 0
		.amdhsa_exception_fp_denorm_src 0
		.amdhsa_exception_fp_ieee_div_zero 0
		.amdhsa_exception_fp_ieee_overflow 0
		.amdhsa_exception_fp_ieee_underflow 0
		.amdhsa_exception_fp_ieee_inexact 0
		.amdhsa_exception_int_div_zero 0
	.end_amdhsa_kernel
	.section	.text._ZN2at6native12_GLOBAL__N_132replication_pad_forward_kernel1dIdEEvN5torch10headeronly6detail27GenericPackedTensorAccessorINS5_14TensorAccessorIN3c108ArrayRefIlEEKT_Lm2ENS4_16DefaultPtrTraitsElEENS_6detail16IndexBoundsCheckILm3ElEESC_Lm3ESD_lEENS6_INS7_ISA_SB_Lm2ESD_lEESH_SB_Lm3ESD_lEEiii,"axG",@progbits,_ZN2at6native12_GLOBAL__N_132replication_pad_forward_kernel1dIdEEvN5torch10headeronly6detail27GenericPackedTensorAccessorINS5_14TensorAccessorIN3c108ArrayRefIlEEKT_Lm2ENS4_16DefaultPtrTraitsElEENS_6detail16IndexBoundsCheckILm3ElEESC_Lm3ESD_lEENS6_INS7_ISA_SB_Lm2ESD_lEESH_SB_Lm3ESD_lEEiii,comdat
.Lfunc_end17:
	.size	_ZN2at6native12_GLOBAL__N_132replication_pad_forward_kernel1dIdEEvN5torch10headeronly6detail27GenericPackedTensorAccessorINS5_14TensorAccessorIN3c108ArrayRefIlEEKT_Lm2ENS4_16DefaultPtrTraitsElEENS_6detail16IndexBoundsCheckILm3ElEESC_Lm3ESD_lEENS6_INS7_ISA_SB_Lm2ESD_lEESH_SB_Lm3ESD_lEEiii, .Lfunc_end17-_ZN2at6native12_GLOBAL__N_132replication_pad_forward_kernel1dIdEEvN5torch10headeronly6detail27GenericPackedTensorAccessorINS5_14TensorAccessorIN3c108ArrayRefIlEEKT_Lm2ENS4_16DefaultPtrTraitsElEENS_6detail16IndexBoundsCheckILm3ElEESC_Lm3ESD_lEENS6_INS7_ISA_SB_Lm2ESD_lEESH_SB_Lm3ESD_lEEiii
                                        ; -- End function
	.set _ZN2at6native12_GLOBAL__N_132replication_pad_forward_kernel1dIdEEvN5torch10headeronly6detail27GenericPackedTensorAccessorINS5_14TensorAccessorIN3c108ArrayRefIlEEKT_Lm2ENS4_16DefaultPtrTraitsElEENS_6detail16IndexBoundsCheckILm3ElEESC_Lm3ESD_lEENS6_INS7_ISA_SB_Lm2ESD_lEESH_SB_Lm3ESD_lEEiii.num_vgpr, 10
	.set _ZN2at6native12_GLOBAL__N_132replication_pad_forward_kernel1dIdEEvN5torch10headeronly6detail27GenericPackedTensorAccessorINS5_14TensorAccessorIN3c108ArrayRefIlEEKT_Lm2ENS4_16DefaultPtrTraitsElEENS_6detail16IndexBoundsCheckILm3ElEESC_Lm3ESD_lEENS6_INS7_ISA_SB_Lm2ESD_lEESH_SB_Lm3ESD_lEEiii.num_agpr, 0
	.set _ZN2at6native12_GLOBAL__N_132replication_pad_forward_kernel1dIdEEvN5torch10headeronly6detail27GenericPackedTensorAccessorINS5_14TensorAccessorIN3c108ArrayRefIlEEKT_Lm2ENS4_16DefaultPtrTraitsElEENS_6detail16IndexBoundsCheckILm3ElEESC_Lm3ESD_lEENS6_INS7_ISA_SB_Lm2ESD_lEESH_SB_Lm3ESD_lEEiii.numbered_sgpr, 19
	.set _ZN2at6native12_GLOBAL__N_132replication_pad_forward_kernel1dIdEEvN5torch10headeronly6detail27GenericPackedTensorAccessorINS5_14TensorAccessorIN3c108ArrayRefIlEEKT_Lm2ENS4_16DefaultPtrTraitsElEENS_6detail16IndexBoundsCheckILm3ElEESC_Lm3ESD_lEENS6_INS7_ISA_SB_Lm2ESD_lEESH_SB_Lm3ESD_lEEiii.num_named_barrier, 0
	.set _ZN2at6native12_GLOBAL__N_132replication_pad_forward_kernel1dIdEEvN5torch10headeronly6detail27GenericPackedTensorAccessorINS5_14TensorAccessorIN3c108ArrayRefIlEEKT_Lm2ENS4_16DefaultPtrTraitsElEENS_6detail16IndexBoundsCheckILm3ElEESC_Lm3ESD_lEENS6_INS7_ISA_SB_Lm2ESD_lEESH_SB_Lm3ESD_lEEiii.private_seg_size, 0
	.set _ZN2at6native12_GLOBAL__N_132replication_pad_forward_kernel1dIdEEvN5torch10headeronly6detail27GenericPackedTensorAccessorINS5_14TensorAccessorIN3c108ArrayRefIlEEKT_Lm2ENS4_16DefaultPtrTraitsElEENS_6detail16IndexBoundsCheckILm3ElEESC_Lm3ESD_lEENS6_INS7_ISA_SB_Lm2ESD_lEESH_SB_Lm3ESD_lEEiii.uses_vcc, 1
	.set _ZN2at6native12_GLOBAL__N_132replication_pad_forward_kernel1dIdEEvN5torch10headeronly6detail27GenericPackedTensorAccessorINS5_14TensorAccessorIN3c108ArrayRefIlEEKT_Lm2ENS4_16DefaultPtrTraitsElEENS_6detail16IndexBoundsCheckILm3ElEESC_Lm3ESD_lEENS6_INS7_ISA_SB_Lm2ESD_lEESH_SB_Lm3ESD_lEEiii.uses_flat_scratch, 0
	.set _ZN2at6native12_GLOBAL__N_132replication_pad_forward_kernel1dIdEEvN5torch10headeronly6detail27GenericPackedTensorAccessorINS5_14TensorAccessorIN3c108ArrayRefIlEEKT_Lm2ENS4_16DefaultPtrTraitsElEENS_6detail16IndexBoundsCheckILm3ElEESC_Lm3ESD_lEENS6_INS7_ISA_SB_Lm2ESD_lEESH_SB_Lm3ESD_lEEiii.has_dyn_sized_stack, 0
	.set _ZN2at6native12_GLOBAL__N_132replication_pad_forward_kernel1dIdEEvN5torch10headeronly6detail27GenericPackedTensorAccessorINS5_14TensorAccessorIN3c108ArrayRefIlEEKT_Lm2ENS4_16DefaultPtrTraitsElEENS_6detail16IndexBoundsCheckILm3ElEESC_Lm3ESD_lEENS6_INS7_ISA_SB_Lm2ESD_lEESH_SB_Lm3ESD_lEEiii.has_recursion, 0
	.set _ZN2at6native12_GLOBAL__N_132replication_pad_forward_kernel1dIdEEvN5torch10headeronly6detail27GenericPackedTensorAccessorINS5_14TensorAccessorIN3c108ArrayRefIlEEKT_Lm2ENS4_16DefaultPtrTraitsElEENS_6detail16IndexBoundsCheckILm3ElEESC_Lm3ESD_lEENS6_INS7_ISA_SB_Lm2ESD_lEESH_SB_Lm3ESD_lEEiii.has_indirect_call, 0
	.section	.AMDGPU.csdata,"",@progbits
; Kernel info:
; codeLenInByte = 1136
; TotalNumSgprs: 21
; NumVgprs: 10
; ScratchSize: 0
; MemoryBound: 0
; FloatMode: 240
; IeeeMode: 1
; LDSByteSize: 0 bytes/workgroup (compile time only)
; SGPRBlocks: 0
; VGPRBlocks: 0
; NumSGPRsForWavesPerEU: 21
; NumVGPRsForWavesPerEU: 10
; NamedBarCnt: 0
; Occupancy: 16
; WaveLimiterHint : 1
; COMPUTE_PGM_RSRC2:SCRATCH_EN: 0
; COMPUTE_PGM_RSRC2:USER_SGPR: 2
; COMPUTE_PGM_RSRC2:TRAP_HANDLER: 0
; COMPUTE_PGM_RSRC2:TGID_X_EN: 1
; COMPUTE_PGM_RSRC2:TGID_Y_EN: 1
; COMPUTE_PGM_RSRC2:TGID_Z_EN: 1
; COMPUTE_PGM_RSRC2:TIDIG_COMP_CNT: 0
	.section	.text._ZN2at6native12_GLOBAL__N_132replication_pad_forward_kernel1dIfEEvN5torch10headeronly6detail27GenericPackedTensorAccessorINS5_14TensorAccessorIN3c108ArrayRefIlEEKT_Lm2ENS4_16DefaultPtrTraitsElEENS_6detail16IndexBoundsCheckILm3ElEESC_Lm3ESD_lEENS6_INS7_ISA_SB_Lm2ESD_lEESH_SB_Lm3ESD_lEEiii,"axG",@progbits,_ZN2at6native12_GLOBAL__N_132replication_pad_forward_kernel1dIfEEvN5torch10headeronly6detail27GenericPackedTensorAccessorINS5_14TensorAccessorIN3c108ArrayRefIlEEKT_Lm2ENS4_16DefaultPtrTraitsElEENS_6detail16IndexBoundsCheckILm3ElEESC_Lm3ESD_lEENS6_INS7_ISA_SB_Lm2ESD_lEESH_SB_Lm3ESD_lEEiii,comdat
	.globl	_ZN2at6native12_GLOBAL__N_132replication_pad_forward_kernel1dIfEEvN5torch10headeronly6detail27GenericPackedTensorAccessorINS5_14TensorAccessorIN3c108ArrayRefIlEEKT_Lm2ENS4_16DefaultPtrTraitsElEENS_6detail16IndexBoundsCheckILm3ElEESC_Lm3ESD_lEENS6_INS7_ISA_SB_Lm2ESD_lEESH_SB_Lm3ESD_lEEiii ; -- Begin function _ZN2at6native12_GLOBAL__N_132replication_pad_forward_kernel1dIfEEvN5torch10headeronly6detail27GenericPackedTensorAccessorINS5_14TensorAccessorIN3c108ArrayRefIlEEKT_Lm2ENS4_16DefaultPtrTraitsElEENS_6detail16IndexBoundsCheckILm3ElEESC_Lm3ESD_lEENS6_INS7_ISA_SB_Lm2ESD_lEESH_SB_Lm3ESD_lEEiii
	.p2align	8
	.type	_ZN2at6native12_GLOBAL__N_132replication_pad_forward_kernel1dIfEEvN5torch10headeronly6detail27GenericPackedTensorAccessorINS5_14TensorAccessorIN3c108ArrayRefIlEEKT_Lm2ENS4_16DefaultPtrTraitsElEENS_6detail16IndexBoundsCheckILm3ElEESC_Lm3ESD_lEENS6_INS7_ISA_SB_Lm2ESD_lEESH_SB_Lm3ESD_lEEiii,@function
_ZN2at6native12_GLOBAL__N_132replication_pad_forward_kernel1dIfEEvN5torch10headeronly6detail27GenericPackedTensorAccessorINS5_14TensorAccessorIN3c108ArrayRefIlEEKT_Lm2ENS4_16DefaultPtrTraitsElEENS_6detail16IndexBoundsCheckILm3ElEESC_Lm3ESD_lEENS6_INS7_ISA_SB_Lm2ESD_lEESH_SB_Lm3ESD_lEEiii: ; @_ZN2at6native12_GLOBAL__N_132replication_pad_forward_kernel1dIfEEvN5torch10headeronly6detail27GenericPackedTensorAccessorINS5_14TensorAccessorIN3c108ArrayRefIlEEKT_Lm2ENS4_16DefaultPtrTraitsElEENS_6detail16IndexBoundsCheckILm3ElEESC_Lm3ESD_lEENS6_INS7_ISA_SB_Lm2ESD_lEESH_SB_Lm3ESD_lEEiii
; %bb.0:
	s_clause 0x1
	s_load_b32 s2, s[0:1], 0x8c
	s_load_b64 s[4:5], s[0:1], 0x50
	s_bfe_u32 s3, ttmp6, 0x4000c
	v_mov_b32_e32 v2, 0
	s_add_co_i32 s7, s3, 1
	s_and_b32 s6, ttmp6, 15
	s_mul_i32 s7, ttmp9, s7
	s_getreg_b32 s3, hwreg(HW_REG_IB_STS2, 6, 4)
	v_mov_b32_e32 v1, v2
	s_add_co_i32 s6, s6, s7
	s_wait_kmcnt 0x0
	s_and_b32 s2, s2, 0xffff
	s_cmp_eq_u32 s3, 0
	s_cselect_b32 s6, ttmp9, s6
	s_delay_alu instid0(SALU_CYCLE_1) | instskip(SKIP_1) | instid1(VALU_DEP_1)
	v_mad_nc_u64_u32 v[0:1], s2, s6, v[0:1]
	s_mov_b32 s2, exec_lo
	v_cmpx_gt_i64_e64 s[4:5], v[0:1]
	s_cbranch_execz .LBB18_6
; %bb.1:
	v_or_b32_e32 v3, s5, v1
	s_delay_alu instid0(VALU_DEP_1) | instskip(SKIP_1) | instid1(SALU_CYCLE_1)
	v_cmp_ne_u64_e32 vcc_lo, 0, v[2:3]
                                        ; implicit-def: $vgpr2_vgpr3
	s_and_saveexec_b32 s2, vcc_lo
	s_xor_b32 s6, exec_lo, s2
	s_cbranch_execz .LBB18_3
; %bb.2:
	s_cvt_f32_u32 s2, s4
	s_cvt_f32_u32 s7, s5
	s_sub_nc_u64 s[10:11], 0, s[4:5]
	s_mov_b32 s15, 0
	v_dual_mov_b32 v3, 0 :: v_dual_mov_b32 v2, v0
	s_fmamk_f32 s2, s7, 0x4f800000, s2
	s_delay_alu instid0(SALU_CYCLE_3) | instskip(NEXT) | instid1(TRANS32_DEP_1)
	v_s_rcp_f32 s2, s2
	s_mul_f32 s2, s2, 0x5f7ffffc
	s_delay_alu instid0(SALU_CYCLE_3) | instskip(NEXT) | instid1(SALU_CYCLE_3)
	s_mul_f32 s7, s2, 0x2f800000
	s_trunc_f32 s7, s7
	s_delay_alu instid0(SALU_CYCLE_3) | instskip(SKIP_1) | instid1(SALU_CYCLE_2)
	s_fmamk_f32 s2, s7, 0xcf800000, s2
	s_cvt_u32_f32 s9, s7
	s_cvt_u32_f32 s8, s2
	s_delay_alu instid0(SALU_CYCLE_3) | instskip(NEXT) | instid1(SALU_CYCLE_1)
	s_mul_u64 s[12:13], s[10:11], s[8:9]
	s_mul_hi_u32 s17, s8, s13
	s_mul_i32 s16, s8, s13
	s_mul_hi_u32 s14, s8, s12
	s_mul_i32 s7, s9, s12
	s_add_nc_u64 s[16:17], s[14:15], s[16:17]
	s_mul_hi_u32 s2, s9, s12
	s_mul_hi_u32 s18, s9, s13
	s_add_co_u32 s7, s16, s7
	s_add_co_ci_u32 s14, s17, s2
	s_mul_i32 s12, s9, s13
	s_add_co_ci_u32 s13, s18, 0
	s_delay_alu instid0(SALU_CYCLE_1) | instskip(NEXT) | instid1(SALU_CYCLE_1)
	s_add_nc_u64 s[12:13], s[14:15], s[12:13]
	s_add_co_u32 s8, s8, s12
	s_cselect_b32 s2, -1, 0
	s_delay_alu instid0(SALU_CYCLE_1) | instskip(SKIP_1) | instid1(SALU_CYCLE_1)
	s_cmp_lg_u32 s2, 0
	s_add_co_ci_u32 s9, s9, s13
	s_mul_u64 s[10:11], s[10:11], s[8:9]
	s_delay_alu instid0(SALU_CYCLE_1)
	s_mul_hi_u32 s13, s8, s11
	s_mul_i32 s12, s8, s11
	s_mul_hi_u32 s14, s8, s10
	s_mul_i32 s7, s9, s10
	s_add_nc_u64 s[12:13], s[14:15], s[12:13]
	s_mul_hi_u32 s2, s9, s10
	s_mul_hi_u32 s16, s9, s11
	s_add_co_u32 s7, s12, s7
	s_add_co_ci_u32 s14, s13, s2
	s_mul_i32 s10, s9, s11
	s_add_co_ci_u32 s11, s16, 0
	s_delay_alu instid0(SALU_CYCLE_1) | instskip(NEXT) | instid1(SALU_CYCLE_1)
	s_add_nc_u64 s[10:11], s[14:15], s[10:11]
	s_add_co_u32 s2, s8, s10
	s_cselect_b32 s7, -1, 0
	s_delay_alu instid0(SALU_CYCLE_1)
	s_cmp_lg_u32 s7, 0
	s_add_co_ci_u32 s14, s9, s11
	s_mov_b64 s[8:9], 0xffffffff
	v_mul_u64_e32 v[4:5], s[14:15], v[2:3]
	v_mul_hi_u32 v2, v0, s2
	s_and_b64 s[8:9], s[2:3], s[8:9]
	s_delay_alu instid0(VALU_DEP_1) | instskip(SKIP_1) | instid1(VALU_DEP_1)
	v_add_nc_u64_e32 v[4:5], v[2:3], v[4:5]
	v_mov_b32_e32 v2, v1
	v_mul_u64_e32 v[6:7], s[8:9], v[2:3]
	v_mul_u64_e32 v[8:9], s[14:15], v[2:3]
	s_delay_alu instid0(VALU_DEP_2) | instskip(NEXT) | instid1(VALU_DEP_3)
	v_add_co_u32 v2, vcc_lo, v4, v6
	v_add_co_ci_u32_e32 v2, vcc_lo, v5, v7, vcc_lo
	s_delay_alu instid0(VALU_DEP_3) | instskip(NEXT) | instid1(VALU_DEP_1)
	v_add_co_ci_u32_e32 v9, vcc_lo, 0, v9, vcc_lo
	v_add_nc_u64_e32 v[2:3], v[2:3], v[8:9]
	s_delay_alu instid0(VALU_DEP_1) | instskip(NEXT) | instid1(VALU_DEP_1)
	v_mul_u64_e32 v[2:3], s[4:5], v[2:3]
	v_sub_nc_u32_e32 v4, v1, v3
	s_delay_alu instid0(VALU_DEP_2) | instskip(NEXT) | instid1(VALU_DEP_1)
	v_sub_co_u32 v0, vcc_lo, v0, v2
	v_sub_co_ci_u32_e64 v1, null, v1, v3, vcc_lo
	s_delay_alu instid0(VALU_DEP_3) | instskip(NEXT) | instid1(VALU_DEP_3)
	v_subrev_co_ci_u32_e64 v2, null, s5, v4, vcc_lo
	v_sub_co_u32 v3, vcc_lo, v0, s4
	v_cmp_le_u32_e64 s2, s4, v0
	s_delay_alu instid0(VALU_DEP_3) | instskip(SKIP_1) | instid1(VALU_DEP_3)
	v_subrev_co_ci_u32_e64 v4, null, 0, v2, vcc_lo
	v_subrev_co_ci_u32_e64 v2, null, s5, v2, vcc_lo
	v_cndmask_b32_e64 v5, 0, -1, s2
	v_cmp_le_u32_e64 s2, s4, v3
	v_cmp_le_u32_e32 vcc_lo, s5, v1
	s_delay_alu instid0(VALU_DEP_2) | instskip(SKIP_3) | instid1(VALU_DEP_3)
	v_cndmask_b32_e64 v6, 0, -1, s2
	v_cmp_le_u32_e64 s2, s5, v4
	v_cndmask_b32_e64 v8, 0, -1, vcc_lo
	v_cmp_eq_u32_e32 vcc_lo, s5, v4
	v_cndmask_b32_e64 v7, 0, -1, s2
	v_cmp_eq_u32_e64 s2, s5, v1
	s_delay_alu instid0(VALU_DEP_1) | instskip(SKIP_1) | instid1(VALU_DEP_1)
	v_dual_cndmask_b32 v6, v7, v6, vcc_lo :: v_dual_cndmask_b32 v5, v8, v5, s2
	v_sub_co_u32 v7, vcc_lo, v3, s4
	v_subrev_co_ci_u32_e64 v2, null, 0, v2, vcc_lo
	s_delay_alu instid0(VALU_DEP_3) | instskip(NEXT) | instid1(VALU_DEP_2)
	v_cmp_ne_u32_e32 vcc_lo, 0, v6
	v_dual_cndmask_b32 v2, v4, v2, vcc_lo :: v_dual_cndmask_b32 v4, v3, v7, vcc_lo
	v_cmp_ne_u32_e32 vcc_lo, 0, v5
	s_delay_alu instid0(VALU_DEP_2)
	v_dual_cndmask_b32 v3, v1, v2 :: v_dual_cndmask_b32 v2, v0, v4
                                        ; implicit-def: $vgpr0_vgpr1
.LBB18_3:
	s_and_not1_saveexec_b32 s2, s6
	s_cbranch_execz .LBB18_5
; %bb.4:
	v_cvt_f32_u32_e32 v1, s4
	s_sub_co_i32 s5, 0, s4
	v_mov_b32_e32 v3, 0
	s_delay_alu instid0(VALU_DEP_2) | instskip(SKIP_1) | instid1(TRANS32_DEP_1)
	v_rcp_iflag_f32_e32 v1, v1
	v_nop
	v_mul_f32_e32 v1, 0x4f7ffffe, v1
	s_delay_alu instid0(VALU_DEP_1) | instskip(NEXT) | instid1(VALU_DEP_1)
	v_cvt_u32_f32_e32 v1, v1
	v_mul_lo_u32 v2, s5, v1
	s_delay_alu instid0(VALU_DEP_1) | instskip(NEXT) | instid1(VALU_DEP_1)
	v_mul_hi_u32 v2, v1, v2
	v_add_nc_u32_e32 v1, v1, v2
	s_delay_alu instid0(VALU_DEP_1) | instskip(NEXT) | instid1(VALU_DEP_1)
	v_mul_hi_u32 v1, v0, v1
	v_mul_lo_u32 v1, v1, s4
	s_delay_alu instid0(VALU_DEP_1) | instskip(NEXT) | instid1(VALU_DEP_1)
	v_sub_nc_u32_e32 v0, v0, v1
	v_subrev_nc_u32_e32 v1, s4, v0
	v_cmp_le_u32_e32 vcc_lo, s4, v0
	s_delay_alu instid0(VALU_DEP_2) | instskip(NEXT) | instid1(VALU_DEP_1)
	v_cndmask_b32_e32 v0, v0, v1, vcc_lo
	v_subrev_nc_u32_e32 v1, s4, v0
	v_cmp_le_u32_e32 vcc_lo, s4, v0
	s_delay_alu instid0(VALU_DEP_2)
	v_cndmask_b32_e32 v2, v0, v1, vcc_lo
.LBB18_5:
	s_or_b32 exec_lo, exec_lo, s2
	s_clause 0x1
	s_load_b96 s[12:14], s[0:1], 0x70
	s_load_b256 s[4:11], s[0:1], 0x18
	s_bfe_u32 s2, ttmp6, 0x40014
	s_bfe_u32 s15, ttmp6, 0x40010
	s_wait_kmcnt 0x0
	s_lshr_b32 s5, ttmp7, 16
	s_add_co_i32 s2, s2, 1
	s_and_b32 s16, ttmp7, 0xffff
	s_add_co_i32 s15, s15, 1
	s_mul_i32 s2, s5, s2
	s_bfe_u32 s17, ttmp6, 0x40008
	s_mul_i32 s15, s16, s15
	s_bfe_u32 s18, ttmp6, 0x40004
	s_add_co_i32 s17, s17, s2
	s_add_co_i32 s18, s18, s15
	s_cmp_eq_u32 s3, 0
	s_load_b64 s[2:3], s[0:1], 0x68
	s_cselect_b32 s15, s16, s18
	s_cselect_b32 s16, s5, s17
	s_sub_co_i32 s5, 0, s12
	s_add_co_i32 s4, s12, s4
	s_max_i32 s5, s5, 0
	s_add_co_i32 s4, s4, -1
	s_delay_alu instid0(SALU_CYCLE_1)
	v_maxmin_i32 v0, s12, v2, s4
	s_max_i32 s4, s12, 0
	s_add_co_i32 s12, s13, s15
	s_sub_co_i32 s4, s5, s4
	s_delay_alu instid0(VALU_DEP_1) | instid1(SALU_CYCLE_1)
	v_add_nc_u32_e32 v0, s4, v0
	s_load_b64 s[4:5], s[0:1], 0x0
	s_delay_alu instid0(VALU_DEP_1) | instskip(NEXT) | instid1(VALU_DEP_1)
	v_ashrrev_i32_e32 v1, 31, v0
	v_mul_u64_e32 v[0:1], s[10:11], v[0:1]
	s_mov_b32 s11, 0
	s_add_co_i32 s10, s14, s16
	s_mov_b32 s13, s11
	s_mul_u64 s[6:7], s[6:7], s[10:11]
	s_mul_u64 s[8:9], s[8:9], s[12:13]
	s_lshl_b64 s[6:7], s[6:7], 2
	s_wait_kmcnt 0x0
	s_add_nc_u64 s[4:5], s[4:5], s[6:7]
	s_lshl_b64 s[6:7], s[8:9], 2
	s_delay_alu instid0(SALU_CYCLE_1)
	s_add_nc_u64 s[4:5], s[4:5], s[6:7]
	s_delay_alu instid0(VALU_DEP_1) | instid1(SALU_CYCLE_1)
	v_lshl_add_u64 v[0:1], v[0:1], 2, s[4:5]
	global_load_b32 v4, v[0:1], off
	s_wait_xcnt 0x0
	v_mul_u64_e32 v[0:1], s[2:3], v[2:3]
	s_clause 0x1
	s_load_b128 s[4:7], s[0:1], 0x58
	s_load_b64 s[2:3], s[0:1], 0x38
	s_wait_kmcnt 0x0
	s_mul_u64 s[0:1], s[4:5], s[10:11]
	s_mul_u64 s[4:5], s[6:7], s[12:13]
	s_lshl_b64 s[0:1], s[0:1], 2
	s_delay_alu instid0(SALU_CYCLE_1) | instskip(SKIP_1) | instid1(SALU_CYCLE_1)
	s_add_nc_u64 s[0:1], s[2:3], s[0:1]
	s_lshl_b64 s[2:3], s[4:5], 2
	s_add_nc_u64 s[0:1], s[0:1], s[2:3]
	s_delay_alu instid0(VALU_DEP_1) | instid1(SALU_CYCLE_1)
	v_lshl_add_u64 v[0:1], v[0:1], 2, s[0:1]
	s_wait_loadcnt 0x0
	global_store_b32 v[0:1], v4, off
.LBB18_6:
	s_endpgm
	.section	.rodata,"a",@progbits
	.p2align	6, 0x0
	.amdhsa_kernel _ZN2at6native12_GLOBAL__N_132replication_pad_forward_kernel1dIfEEvN5torch10headeronly6detail27GenericPackedTensorAccessorINS5_14TensorAccessorIN3c108ArrayRefIlEEKT_Lm2ENS4_16DefaultPtrTraitsElEENS_6detail16IndexBoundsCheckILm3ElEESC_Lm3ESD_lEENS6_INS7_ISA_SB_Lm2ESD_lEESH_SB_Lm3ESD_lEEiii
		.amdhsa_group_segment_fixed_size 0
		.amdhsa_private_segment_fixed_size 0
		.amdhsa_kernarg_size 384
		.amdhsa_user_sgpr_count 2
		.amdhsa_user_sgpr_dispatch_ptr 0
		.amdhsa_user_sgpr_queue_ptr 0
		.amdhsa_user_sgpr_kernarg_segment_ptr 1
		.amdhsa_user_sgpr_dispatch_id 0
		.amdhsa_user_sgpr_kernarg_preload_length 0
		.amdhsa_user_sgpr_kernarg_preload_offset 0
		.amdhsa_user_sgpr_private_segment_size 0
		.amdhsa_wavefront_size32 1
		.amdhsa_uses_dynamic_stack 0
		.amdhsa_enable_private_segment 0
		.amdhsa_system_sgpr_workgroup_id_x 1
		.amdhsa_system_sgpr_workgroup_id_y 1
		.amdhsa_system_sgpr_workgroup_id_z 1
		.amdhsa_system_sgpr_workgroup_info 0
		.amdhsa_system_vgpr_workitem_id 0
		.amdhsa_next_free_vgpr 10
		.amdhsa_next_free_sgpr 19
		.amdhsa_named_barrier_count 0
		.amdhsa_reserve_vcc 1
		.amdhsa_float_round_mode_32 0
		.amdhsa_float_round_mode_16_64 0
		.amdhsa_float_denorm_mode_32 3
		.amdhsa_float_denorm_mode_16_64 3
		.amdhsa_fp16_overflow 0
		.amdhsa_memory_ordered 1
		.amdhsa_forward_progress 1
		.amdhsa_inst_pref_size 9
		.amdhsa_round_robin_scheduling 0
		.amdhsa_exception_fp_ieee_invalid_op 0
		.amdhsa_exception_fp_denorm_src 0
		.amdhsa_exception_fp_ieee_div_zero 0
		.amdhsa_exception_fp_ieee_overflow 0
		.amdhsa_exception_fp_ieee_underflow 0
		.amdhsa_exception_fp_ieee_inexact 0
		.amdhsa_exception_int_div_zero 0
	.end_amdhsa_kernel
	.section	.text._ZN2at6native12_GLOBAL__N_132replication_pad_forward_kernel1dIfEEvN5torch10headeronly6detail27GenericPackedTensorAccessorINS5_14TensorAccessorIN3c108ArrayRefIlEEKT_Lm2ENS4_16DefaultPtrTraitsElEENS_6detail16IndexBoundsCheckILm3ElEESC_Lm3ESD_lEENS6_INS7_ISA_SB_Lm2ESD_lEESH_SB_Lm3ESD_lEEiii,"axG",@progbits,_ZN2at6native12_GLOBAL__N_132replication_pad_forward_kernel1dIfEEvN5torch10headeronly6detail27GenericPackedTensorAccessorINS5_14TensorAccessorIN3c108ArrayRefIlEEKT_Lm2ENS4_16DefaultPtrTraitsElEENS_6detail16IndexBoundsCheckILm3ElEESC_Lm3ESD_lEENS6_INS7_ISA_SB_Lm2ESD_lEESH_SB_Lm3ESD_lEEiii,comdat
.Lfunc_end18:
	.size	_ZN2at6native12_GLOBAL__N_132replication_pad_forward_kernel1dIfEEvN5torch10headeronly6detail27GenericPackedTensorAccessorINS5_14TensorAccessorIN3c108ArrayRefIlEEKT_Lm2ENS4_16DefaultPtrTraitsElEENS_6detail16IndexBoundsCheckILm3ElEESC_Lm3ESD_lEENS6_INS7_ISA_SB_Lm2ESD_lEESH_SB_Lm3ESD_lEEiii, .Lfunc_end18-_ZN2at6native12_GLOBAL__N_132replication_pad_forward_kernel1dIfEEvN5torch10headeronly6detail27GenericPackedTensorAccessorINS5_14TensorAccessorIN3c108ArrayRefIlEEKT_Lm2ENS4_16DefaultPtrTraitsElEENS_6detail16IndexBoundsCheckILm3ElEESC_Lm3ESD_lEENS6_INS7_ISA_SB_Lm2ESD_lEESH_SB_Lm3ESD_lEEiii
                                        ; -- End function
	.set _ZN2at6native12_GLOBAL__N_132replication_pad_forward_kernel1dIfEEvN5torch10headeronly6detail27GenericPackedTensorAccessorINS5_14TensorAccessorIN3c108ArrayRefIlEEKT_Lm2ENS4_16DefaultPtrTraitsElEENS_6detail16IndexBoundsCheckILm3ElEESC_Lm3ESD_lEENS6_INS7_ISA_SB_Lm2ESD_lEESH_SB_Lm3ESD_lEEiii.num_vgpr, 10
	.set _ZN2at6native12_GLOBAL__N_132replication_pad_forward_kernel1dIfEEvN5torch10headeronly6detail27GenericPackedTensorAccessorINS5_14TensorAccessorIN3c108ArrayRefIlEEKT_Lm2ENS4_16DefaultPtrTraitsElEENS_6detail16IndexBoundsCheckILm3ElEESC_Lm3ESD_lEENS6_INS7_ISA_SB_Lm2ESD_lEESH_SB_Lm3ESD_lEEiii.num_agpr, 0
	.set _ZN2at6native12_GLOBAL__N_132replication_pad_forward_kernel1dIfEEvN5torch10headeronly6detail27GenericPackedTensorAccessorINS5_14TensorAccessorIN3c108ArrayRefIlEEKT_Lm2ENS4_16DefaultPtrTraitsElEENS_6detail16IndexBoundsCheckILm3ElEESC_Lm3ESD_lEENS6_INS7_ISA_SB_Lm2ESD_lEESH_SB_Lm3ESD_lEEiii.numbered_sgpr, 19
	.set _ZN2at6native12_GLOBAL__N_132replication_pad_forward_kernel1dIfEEvN5torch10headeronly6detail27GenericPackedTensorAccessorINS5_14TensorAccessorIN3c108ArrayRefIlEEKT_Lm2ENS4_16DefaultPtrTraitsElEENS_6detail16IndexBoundsCheckILm3ElEESC_Lm3ESD_lEENS6_INS7_ISA_SB_Lm2ESD_lEESH_SB_Lm3ESD_lEEiii.num_named_barrier, 0
	.set _ZN2at6native12_GLOBAL__N_132replication_pad_forward_kernel1dIfEEvN5torch10headeronly6detail27GenericPackedTensorAccessorINS5_14TensorAccessorIN3c108ArrayRefIlEEKT_Lm2ENS4_16DefaultPtrTraitsElEENS_6detail16IndexBoundsCheckILm3ElEESC_Lm3ESD_lEENS6_INS7_ISA_SB_Lm2ESD_lEESH_SB_Lm3ESD_lEEiii.private_seg_size, 0
	.set _ZN2at6native12_GLOBAL__N_132replication_pad_forward_kernel1dIfEEvN5torch10headeronly6detail27GenericPackedTensorAccessorINS5_14TensorAccessorIN3c108ArrayRefIlEEKT_Lm2ENS4_16DefaultPtrTraitsElEENS_6detail16IndexBoundsCheckILm3ElEESC_Lm3ESD_lEENS6_INS7_ISA_SB_Lm2ESD_lEESH_SB_Lm3ESD_lEEiii.uses_vcc, 1
	.set _ZN2at6native12_GLOBAL__N_132replication_pad_forward_kernel1dIfEEvN5torch10headeronly6detail27GenericPackedTensorAccessorINS5_14TensorAccessorIN3c108ArrayRefIlEEKT_Lm2ENS4_16DefaultPtrTraitsElEENS_6detail16IndexBoundsCheckILm3ElEESC_Lm3ESD_lEENS6_INS7_ISA_SB_Lm2ESD_lEESH_SB_Lm3ESD_lEEiii.uses_flat_scratch, 0
	.set _ZN2at6native12_GLOBAL__N_132replication_pad_forward_kernel1dIfEEvN5torch10headeronly6detail27GenericPackedTensorAccessorINS5_14TensorAccessorIN3c108ArrayRefIlEEKT_Lm2ENS4_16DefaultPtrTraitsElEENS_6detail16IndexBoundsCheckILm3ElEESC_Lm3ESD_lEENS6_INS7_ISA_SB_Lm2ESD_lEESH_SB_Lm3ESD_lEEiii.has_dyn_sized_stack, 0
	.set _ZN2at6native12_GLOBAL__N_132replication_pad_forward_kernel1dIfEEvN5torch10headeronly6detail27GenericPackedTensorAccessorINS5_14TensorAccessorIN3c108ArrayRefIlEEKT_Lm2ENS4_16DefaultPtrTraitsElEENS_6detail16IndexBoundsCheckILm3ElEESC_Lm3ESD_lEENS6_INS7_ISA_SB_Lm2ESD_lEESH_SB_Lm3ESD_lEEiii.has_recursion, 0
	.set _ZN2at6native12_GLOBAL__N_132replication_pad_forward_kernel1dIfEEvN5torch10headeronly6detail27GenericPackedTensorAccessorINS5_14TensorAccessorIN3c108ArrayRefIlEEKT_Lm2ENS4_16DefaultPtrTraitsElEENS_6detail16IndexBoundsCheckILm3ElEESC_Lm3ESD_lEENS6_INS7_ISA_SB_Lm2ESD_lEESH_SB_Lm3ESD_lEEiii.has_indirect_call, 0
	.section	.AMDGPU.csdata,"",@progbits
; Kernel info:
; codeLenInByte = 1140
; TotalNumSgprs: 21
; NumVgprs: 10
; ScratchSize: 0
; MemoryBound: 0
; FloatMode: 240
; IeeeMode: 1
; LDSByteSize: 0 bytes/workgroup (compile time only)
; SGPRBlocks: 0
; VGPRBlocks: 0
; NumSGPRsForWavesPerEU: 21
; NumVGPRsForWavesPerEU: 10
; NamedBarCnt: 0
; Occupancy: 16
; WaveLimiterHint : 1
; COMPUTE_PGM_RSRC2:SCRATCH_EN: 0
; COMPUTE_PGM_RSRC2:USER_SGPR: 2
; COMPUTE_PGM_RSRC2:TRAP_HANDLER: 0
; COMPUTE_PGM_RSRC2:TGID_X_EN: 1
; COMPUTE_PGM_RSRC2:TGID_Y_EN: 1
; COMPUTE_PGM_RSRC2:TGID_Z_EN: 1
; COMPUTE_PGM_RSRC2:TIDIG_COMP_CNT: 0
	.section	.text._ZN2at6native12_GLOBAL__N_132replication_pad_forward_kernel1dIN3c107complexIdEEEEvN5torch10headeronly6detail27GenericPackedTensorAccessorINS8_14TensorAccessorINS3_8ArrayRefIlEEKT_Lm2ENS7_16DefaultPtrTraitsElEENS_6detail16IndexBoundsCheckILm3ElEESE_Lm3ESF_lEENS9_INSA_ISC_SD_Lm2ESF_lEESJ_SD_Lm3ESF_lEEiii,"axG",@progbits,_ZN2at6native12_GLOBAL__N_132replication_pad_forward_kernel1dIN3c107complexIdEEEEvN5torch10headeronly6detail27GenericPackedTensorAccessorINS8_14TensorAccessorINS3_8ArrayRefIlEEKT_Lm2ENS7_16DefaultPtrTraitsElEENS_6detail16IndexBoundsCheckILm3ElEESE_Lm3ESF_lEENS9_INSA_ISC_SD_Lm2ESF_lEESJ_SD_Lm3ESF_lEEiii,comdat
	.globl	_ZN2at6native12_GLOBAL__N_132replication_pad_forward_kernel1dIN3c107complexIdEEEEvN5torch10headeronly6detail27GenericPackedTensorAccessorINS8_14TensorAccessorINS3_8ArrayRefIlEEKT_Lm2ENS7_16DefaultPtrTraitsElEENS_6detail16IndexBoundsCheckILm3ElEESE_Lm3ESF_lEENS9_INSA_ISC_SD_Lm2ESF_lEESJ_SD_Lm3ESF_lEEiii ; -- Begin function _ZN2at6native12_GLOBAL__N_132replication_pad_forward_kernel1dIN3c107complexIdEEEEvN5torch10headeronly6detail27GenericPackedTensorAccessorINS8_14TensorAccessorINS3_8ArrayRefIlEEKT_Lm2ENS7_16DefaultPtrTraitsElEENS_6detail16IndexBoundsCheckILm3ElEESE_Lm3ESF_lEENS9_INSA_ISC_SD_Lm2ESF_lEESJ_SD_Lm3ESF_lEEiii
	.p2align	8
	.type	_ZN2at6native12_GLOBAL__N_132replication_pad_forward_kernel1dIN3c107complexIdEEEEvN5torch10headeronly6detail27GenericPackedTensorAccessorINS8_14TensorAccessorINS3_8ArrayRefIlEEKT_Lm2ENS7_16DefaultPtrTraitsElEENS_6detail16IndexBoundsCheckILm3ElEESE_Lm3ESF_lEENS9_INSA_ISC_SD_Lm2ESF_lEESJ_SD_Lm3ESF_lEEiii,@function
_ZN2at6native12_GLOBAL__N_132replication_pad_forward_kernel1dIN3c107complexIdEEEEvN5torch10headeronly6detail27GenericPackedTensorAccessorINS8_14TensorAccessorINS3_8ArrayRefIlEEKT_Lm2ENS7_16DefaultPtrTraitsElEENS_6detail16IndexBoundsCheckILm3ElEESE_Lm3ESF_lEENS9_INSA_ISC_SD_Lm2ESF_lEESJ_SD_Lm3ESF_lEEiii: ; @_ZN2at6native12_GLOBAL__N_132replication_pad_forward_kernel1dIN3c107complexIdEEEEvN5torch10headeronly6detail27GenericPackedTensorAccessorINS8_14TensorAccessorINS3_8ArrayRefIlEEKT_Lm2ENS7_16DefaultPtrTraitsElEENS_6detail16IndexBoundsCheckILm3ElEESE_Lm3ESF_lEENS9_INSA_ISC_SD_Lm2ESF_lEESJ_SD_Lm3ESF_lEEiii
; %bb.0:
	s_clause 0x1
	s_load_b32 s2, s[0:1], 0x8c
	s_load_b64 s[4:5], s[0:1], 0x50
	s_bfe_u32 s3, ttmp6, 0x4000c
	v_mov_b32_e32 v2, 0
	s_add_co_i32 s7, s3, 1
	s_and_b32 s6, ttmp6, 15
	s_mul_i32 s7, ttmp9, s7
	s_getreg_b32 s3, hwreg(HW_REG_IB_STS2, 6, 4)
	v_mov_b32_e32 v1, v2
	s_add_co_i32 s6, s6, s7
	s_wait_kmcnt 0x0
	s_and_b32 s2, s2, 0xffff
	s_cmp_eq_u32 s3, 0
	s_cselect_b32 s6, ttmp9, s6
	s_delay_alu instid0(SALU_CYCLE_1) | instskip(SKIP_1) | instid1(VALU_DEP_1)
	v_mad_nc_u64_u32 v[0:1], s2, s6, v[0:1]
	s_mov_b32 s2, exec_lo
	v_cmpx_gt_i64_e64 s[4:5], v[0:1]
	s_cbranch_execz .LBB19_6
; %bb.1:
	v_or_b32_e32 v3, s5, v1
	s_delay_alu instid0(VALU_DEP_1) | instskip(SKIP_1) | instid1(SALU_CYCLE_1)
	v_cmp_ne_u64_e32 vcc_lo, 0, v[2:3]
                                        ; implicit-def: $vgpr2_vgpr3
	s_and_saveexec_b32 s2, vcc_lo
	s_xor_b32 s6, exec_lo, s2
	s_cbranch_execz .LBB19_3
; %bb.2:
	s_cvt_f32_u32 s2, s4
	s_cvt_f32_u32 s7, s5
	s_sub_nc_u64 s[10:11], 0, s[4:5]
	s_mov_b32 s15, 0
	v_dual_mov_b32 v3, 0 :: v_dual_mov_b32 v2, v0
	s_fmamk_f32 s2, s7, 0x4f800000, s2
	s_delay_alu instid0(SALU_CYCLE_3) | instskip(NEXT) | instid1(TRANS32_DEP_1)
	v_s_rcp_f32 s2, s2
	s_mul_f32 s2, s2, 0x5f7ffffc
	s_delay_alu instid0(SALU_CYCLE_3) | instskip(NEXT) | instid1(SALU_CYCLE_3)
	s_mul_f32 s7, s2, 0x2f800000
	s_trunc_f32 s7, s7
	s_delay_alu instid0(SALU_CYCLE_3) | instskip(SKIP_1) | instid1(SALU_CYCLE_2)
	s_fmamk_f32 s2, s7, 0xcf800000, s2
	s_cvt_u32_f32 s9, s7
	s_cvt_u32_f32 s8, s2
	s_delay_alu instid0(SALU_CYCLE_3) | instskip(NEXT) | instid1(SALU_CYCLE_1)
	s_mul_u64 s[12:13], s[10:11], s[8:9]
	s_mul_hi_u32 s17, s8, s13
	s_mul_i32 s16, s8, s13
	s_mul_hi_u32 s14, s8, s12
	s_mul_i32 s7, s9, s12
	s_add_nc_u64 s[16:17], s[14:15], s[16:17]
	s_mul_hi_u32 s2, s9, s12
	s_mul_hi_u32 s18, s9, s13
	s_add_co_u32 s7, s16, s7
	s_add_co_ci_u32 s14, s17, s2
	s_mul_i32 s12, s9, s13
	s_add_co_ci_u32 s13, s18, 0
	s_delay_alu instid0(SALU_CYCLE_1) | instskip(NEXT) | instid1(SALU_CYCLE_1)
	s_add_nc_u64 s[12:13], s[14:15], s[12:13]
	s_add_co_u32 s8, s8, s12
	s_cselect_b32 s2, -1, 0
	s_delay_alu instid0(SALU_CYCLE_1) | instskip(SKIP_1) | instid1(SALU_CYCLE_1)
	s_cmp_lg_u32 s2, 0
	s_add_co_ci_u32 s9, s9, s13
	s_mul_u64 s[10:11], s[10:11], s[8:9]
	s_delay_alu instid0(SALU_CYCLE_1)
	s_mul_hi_u32 s13, s8, s11
	s_mul_i32 s12, s8, s11
	s_mul_hi_u32 s14, s8, s10
	s_mul_i32 s7, s9, s10
	s_add_nc_u64 s[12:13], s[14:15], s[12:13]
	s_mul_hi_u32 s2, s9, s10
	s_mul_hi_u32 s16, s9, s11
	s_add_co_u32 s7, s12, s7
	s_add_co_ci_u32 s14, s13, s2
	s_mul_i32 s10, s9, s11
	s_add_co_ci_u32 s11, s16, 0
	s_delay_alu instid0(SALU_CYCLE_1) | instskip(NEXT) | instid1(SALU_CYCLE_1)
	s_add_nc_u64 s[10:11], s[14:15], s[10:11]
	s_add_co_u32 s2, s8, s10
	s_cselect_b32 s7, -1, 0
	s_delay_alu instid0(SALU_CYCLE_1)
	s_cmp_lg_u32 s7, 0
	s_add_co_ci_u32 s14, s9, s11
	s_mov_b64 s[8:9], 0xffffffff
	v_mul_u64_e32 v[4:5], s[14:15], v[2:3]
	v_mul_hi_u32 v2, v0, s2
	s_and_b64 s[8:9], s[2:3], s[8:9]
	s_delay_alu instid0(VALU_DEP_1) | instskip(SKIP_1) | instid1(VALU_DEP_1)
	v_add_nc_u64_e32 v[4:5], v[2:3], v[4:5]
	v_mov_b32_e32 v2, v1
	v_mul_u64_e32 v[6:7], s[8:9], v[2:3]
	v_mul_u64_e32 v[8:9], s[14:15], v[2:3]
	s_delay_alu instid0(VALU_DEP_2) | instskip(NEXT) | instid1(VALU_DEP_3)
	v_add_co_u32 v2, vcc_lo, v4, v6
	v_add_co_ci_u32_e32 v2, vcc_lo, v5, v7, vcc_lo
	s_delay_alu instid0(VALU_DEP_3) | instskip(NEXT) | instid1(VALU_DEP_1)
	v_add_co_ci_u32_e32 v9, vcc_lo, 0, v9, vcc_lo
	v_add_nc_u64_e32 v[2:3], v[2:3], v[8:9]
	s_delay_alu instid0(VALU_DEP_1) | instskip(NEXT) | instid1(VALU_DEP_1)
	v_mul_u64_e32 v[2:3], s[4:5], v[2:3]
	v_sub_nc_u32_e32 v4, v1, v3
	s_delay_alu instid0(VALU_DEP_2) | instskip(NEXT) | instid1(VALU_DEP_1)
	v_sub_co_u32 v0, vcc_lo, v0, v2
	v_sub_co_ci_u32_e64 v1, null, v1, v3, vcc_lo
	s_delay_alu instid0(VALU_DEP_3) | instskip(NEXT) | instid1(VALU_DEP_3)
	v_subrev_co_ci_u32_e64 v2, null, s5, v4, vcc_lo
	v_sub_co_u32 v3, vcc_lo, v0, s4
	v_cmp_le_u32_e64 s2, s4, v0
	s_delay_alu instid0(VALU_DEP_3) | instskip(SKIP_1) | instid1(VALU_DEP_3)
	v_subrev_co_ci_u32_e64 v4, null, 0, v2, vcc_lo
	v_subrev_co_ci_u32_e64 v2, null, s5, v2, vcc_lo
	v_cndmask_b32_e64 v5, 0, -1, s2
	v_cmp_le_u32_e64 s2, s4, v3
	v_cmp_le_u32_e32 vcc_lo, s5, v1
	s_delay_alu instid0(VALU_DEP_2) | instskip(SKIP_3) | instid1(VALU_DEP_3)
	v_cndmask_b32_e64 v6, 0, -1, s2
	v_cmp_le_u32_e64 s2, s5, v4
	v_cndmask_b32_e64 v8, 0, -1, vcc_lo
	v_cmp_eq_u32_e32 vcc_lo, s5, v4
	v_cndmask_b32_e64 v7, 0, -1, s2
	v_cmp_eq_u32_e64 s2, s5, v1
	s_delay_alu instid0(VALU_DEP_1) | instskip(SKIP_1) | instid1(VALU_DEP_1)
	v_dual_cndmask_b32 v6, v7, v6, vcc_lo :: v_dual_cndmask_b32 v5, v8, v5, s2
	v_sub_co_u32 v7, vcc_lo, v3, s4
	v_subrev_co_ci_u32_e64 v2, null, 0, v2, vcc_lo
	s_delay_alu instid0(VALU_DEP_3) | instskip(NEXT) | instid1(VALU_DEP_2)
	v_cmp_ne_u32_e32 vcc_lo, 0, v6
	v_dual_cndmask_b32 v2, v4, v2, vcc_lo :: v_dual_cndmask_b32 v4, v3, v7, vcc_lo
	v_cmp_ne_u32_e32 vcc_lo, 0, v5
	s_delay_alu instid0(VALU_DEP_2)
	v_dual_cndmask_b32 v3, v1, v2 :: v_dual_cndmask_b32 v2, v0, v4
                                        ; implicit-def: $vgpr0_vgpr1
.LBB19_3:
	s_and_not1_saveexec_b32 s2, s6
	s_cbranch_execz .LBB19_5
; %bb.4:
	v_cvt_f32_u32_e32 v1, s4
	s_sub_co_i32 s5, 0, s4
	v_mov_b32_e32 v3, 0
	s_delay_alu instid0(VALU_DEP_2) | instskip(SKIP_1) | instid1(TRANS32_DEP_1)
	v_rcp_iflag_f32_e32 v1, v1
	v_nop
	v_mul_f32_e32 v1, 0x4f7ffffe, v1
	s_delay_alu instid0(VALU_DEP_1) | instskip(NEXT) | instid1(VALU_DEP_1)
	v_cvt_u32_f32_e32 v1, v1
	v_mul_lo_u32 v2, s5, v1
	s_delay_alu instid0(VALU_DEP_1) | instskip(NEXT) | instid1(VALU_DEP_1)
	v_mul_hi_u32 v2, v1, v2
	v_add_nc_u32_e32 v1, v1, v2
	s_delay_alu instid0(VALU_DEP_1) | instskip(NEXT) | instid1(VALU_DEP_1)
	v_mul_hi_u32 v1, v0, v1
	v_mul_lo_u32 v1, v1, s4
	s_delay_alu instid0(VALU_DEP_1) | instskip(NEXT) | instid1(VALU_DEP_1)
	v_sub_nc_u32_e32 v0, v0, v1
	v_subrev_nc_u32_e32 v1, s4, v0
	v_cmp_le_u32_e32 vcc_lo, s4, v0
	s_delay_alu instid0(VALU_DEP_2) | instskip(NEXT) | instid1(VALU_DEP_1)
	v_cndmask_b32_e32 v0, v0, v1, vcc_lo
	v_subrev_nc_u32_e32 v1, s4, v0
	v_cmp_le_u32_e32 vcc_lo, s4, v0
	s_delay_alu instid0(VALU_DEP_2)
	v_cndmask_b32_e32 v2, v0, v1, vcc_lo
.LBB19_5:
	s_or_b32 exec_lo, exec_lo, s2
	s_clause 0x1
	s_load_b96 s[12:14], s[0:1], 0x70
	s_load_b256 s[4:11], s[0:1], 0x18
	s_bfe_u32 s2, ttmp6, 0x40014
	s_bfe_u32 s15, ttmp6, 0x40010
	s_wait_kmcnt 0x0
	s_lshr_b32 s5, ttmp7, 16
	s_add_co_i32 s2, s2, 1
	s_and_b32 s16, ttmp7, 0xffff
	s_add_co_i32 s15, s15, 1
	s_mul_i32 s2, s5, s2
	s_bfe_u32 s17, ttmp6, 0x40008
	s_mul_i32 s15, s16, s15
	s_bfe_u32 s18, ttmp6, 0x40004
	s_add_co_i32 s17, s17, s2
	s_add_co_i32 s18, s18, s15
	s_cmp_eq_u32 s3, 0
	s_load_b64 s[2:3], s[0:1], 0x68
	s_cselect_b32 s15, s16, s18
	s_cselect_b32 s16, s5, s17
	s_sub_co_i32 s5, 0, s12
	s_add_co_i32 s4, s12, s4
	s_max_i32 s5, s5, 0
	s_add_co_i32 s4, s4, -1
	s_delay_alu instid0(SALU_CYCLE_1)
	v_maxmin_i32 v0, s12, v2, s4
	s_max_i32 s4, s12, 0
	s_add_co_i32 s12, s13, s15
	s_sub_co_i32 s4, s5, s4
	s_delay_alu instid0(VALU_DEP_1) | instid1(SALU_CYCLE_1)
	v_add_nc_u32_e32 v0, s4, v0
	s_load_b64 s[4:5], s[0:1], 0x0
	s_delay_alu instid0(VALU_DEP_1) | instskip(NEXT) | instid1(VALU_DEP_1)
	v_ashrrev_i32_e32 v1, 31, v0
	v_mul_u64_e32 v[0:1], s[10:11], v[0:1]
	s_mov_b32 s11, 0
	s_add_co_i32 s10, s14, s16
	s_mov_b32 s13, s11
	s_mul_u64 s[6:7], s[6:7], s[10:11]
	s_mul_u64 s[8:9], s[8:9], s[12:13]
	s_lshl_b64 s[6:7], s[6:7], 4
	s_wait_kmcnt 0x0
	s_add_nc_u64 s[4:5], s[4:5], s[6:7]
	s_lshl_b64 s[6:7], s[8:9], 4
	s_delay_alu instid0(SALU_CYCLE_1)
	s_add_nc_u64 s[4:5], s[4:5], s[6:7]
	s_delay_alu instid0(VALU_DEP_1) | instid1(SALU_CYCLE_1)
	v_lshl_add_u64 v[0:1], v[0:1], 4, s[4:5]
	global_load_b128 v[4:7], v[0:1], off
	s_wait_xcnt 0x0
	v_mul_u64_e32 v[0:1], s[2:3], v[2:3]
	s_clause 0x1
	s_load_b128 s[4:7], s[0:1], 0x58
	s_load_b64 s[2:3], s[0:1], 0x38
	s_wait_kmcnt 0x0
	s_mul_u64 s[0:1], s[4:5], s[10:11]
	s_mul_u64 s[4:5], s[6:7], s[12:13]
	s_lshl_b64 s[0:1], s[0:1], 4
	s_delay_alu instid0(SALU_CYCLE_1) | instskip(SKIP_1) | instid1(SALU_CYCLE_1)
	s_add_nc_u64 s[0:1], s[2:3], s[0:1]
	s_lshl_b64 s[2:3], s[4:5], 4
	s_add_nc_u64 s[0:1], s[0:1], s[2:3]
	s_delay_alu instid0(VALU_DEP_1) | instid1(SALU_CYCLE_1)
	v_lshl_add_u64 v[0:1], v[0:1], 4, s[0:1]
	s_wait_loadcnt 0x0
	global_store_b128 v[0:1], v[4:7], off
.LBB19_6:
	s_endpgm
	.section	.rodata,"a",@progbits
	.p2align	6, 0x0
	.amdhsa_kernel _ZN2at6native12_GLOBAL__N_132replication_pad_forward_kernel1dIN3c107complexIdEEEEvN5torch10headeronly6detail27GenericPackedTensorAccessorINS8_14TensorAccessorINS3_8ArrayRefIlEEKT_Lm2ENS7_16DefaultPtrTraitsElEENS_6detail16IndexBoundsCheckILm3ElEESE_Lm3ESF_lEENS9_INSA_ISC_SD_Lm2ESF_lEESJ_SD_Lm3ESF_lEEiii
		.amdhsa_group_segment_fixed_size 0
		.amdhsa_private_segment_fixed_size 0
		.amdhsa_kernarg_size 384
		.amdhsa_user_sgpr_count 2
		.amdhsa_user_sgpr_dispatch_ptr 0
		.amdhsa_user_sgpr_queue_ptr 0
		.amdhsa_user_sgpr_kernarg_segment_ptr 1
		.amdhsa_user_sgpr_dispatch_id 0
		.amdhsa_user_sgpr_kernarg_preload_length 0
		.amdhsa_user_sgpr_kernarg_preload_offset 0
		.amdhsa_user_sgpr_private_segment_size 0
		.amdhsa_wavefront_size32 1
		.amdhsa_uses_dynamic_stack 0
		.amdhsa_enable_private_segment 0
		.amdhsa_system_sgpr_workgroup_id_x 1
		.amdhsa_system_sgpr_workgroup_id_y 1
		.amdhsa_system_sgpr_workgroup_id_z 1
		.amdhsa_system_sgpr_workgroup_info 0
		.amdhsa_system_vgpr_workitem_id 0
		.amdhsa_next_free_vgpr 10
		.amdhsa_next_free_sgpr 19
		.amdhsa_named_barrier_count 0
		.amdhsa_reserve_vcc 1
		.amdhsa_float_round_mode_32 0
		.amdhsa_float_round_mode_16_64 0
		.amdhsa_float_denorm_mode_32 3
		.amdhsa_float_denorm_mode_16_64 3
		.amdhsa_fp16_overflow 0
		.amdhsa_memory_ordered 1
		.amdhsa_forward_progress 1
		.amdhsa_inst_pref_size 9
		.amdhsa_round_robin_scheduling 0
		.amdhsa_exception_fp_ieee_invalid_op 0
		.amdhsa_exception_fp_denorm_src 0
		.amdhsa_exception_fp_ieee_div_zero 0
		.amdhsa_exception_fp_ieee_overflow 0
		.amdhsa_exception_fp_ieee_underflow 0
		.amdhsa_exception_fp_ieee_inexact 0
		.amdhsa_exception_int_div_zero 0
	.end_amdhsa_kernel
	.section	.text._ZN2at6native12_GLOBAL__N_132replication_pad_forward_kernel1dIN3c107complexIdEEEEvN5torch10headeronly6detail27GenericPackedTensorAccessorINS8_14TensorAccessorINS3_8ArrayRefIlEEKT_Lm2ENS7_16DefaultPtrTraitsElEENS_6detail16IndexBoundsCheckILm3ElEESE_Lm3ESF_lEENS9_INSA_ISC_SD_Lm2ESF_lEESJ_SD_Lm3ESF_lEEiii,"axG",@progbits,_ZN2at6native12_GLOBAL__N_132replication_pad_forward_kernel1dIN3c107complexIdEEEEvN5torch10headeronly6detail27GenericPackedTensorAccessorINS8_14TensorAccessorINS3_8ArrayRefIlEEKT_Lm2ENS7_16DefaultPtrTraitsElEENS_6detail16IndexBoundsCheckILm3ElEESE_Lm3ESF_lEENS9_INSA_ISC_SD_Lm2ESF_lEESJ_SD_Lm3ESF_lEEiii,comdat
.Lfunc_end19:
	.size	_ZN2at6native12_GLOBAL__N_132replication_pad_forward_kernel1dIN3c107complexIdEEEEvN5torch10headeronly6detail27GenericPackedTensorAccessorINS8_14TensorAccessorINS3_8ArrayRefIlEEKT_Lm2ENS7_16DefaultPtrTraitsElEENS_6detail16IndexBoundsCheckILm3ElEESE_Lm3ESF_lEENS9_INSA_ISC_SD_Lm2ESF_lEESJ_SD_Lm3ESF_lEEiii, .Lfunc_end19-_ZN2at6native12_GLOBAL__N_132replication_pad_forward_kernel1dIN3c107complexIdEEEEvN5torch10headeronly6detail27GenericPackedTensorAccessorINS8_14TensorAccessorINS3_8ArrayRefIlEEKT_Lm2ENS7_16DefaultPtrTraitsElEENS_6detail16IndexBoundsCheckILm3ElEESE_Lm3ESF_lEENS9_INSA_ISC_SD_Lm2ESF_lEESJ_SD_Lm3ESF_lEEiii
                                        ; -- End function
	.set _ZN2at6native12_GLOBAL__N_132replication_pad_forward_kernel1dIN3c107complexIdEEEEvN5torch10headeronly6detail27GenericPackedTensorAccessorINS8_14TensorAccessorINS3_8ArrayRefIlEEKT_Lm2ENS7_16DefaultPtrTraitsElEENS_6detail16IndexBoundsCheckILm3ElEESE_Lm3ESF_lEENS9_INSA_ISC_SD_Lm2ESF_lEESJ_SD_Lm3ESF_lEEiii.num_vgpr, 10
	.set _ZN2at6native12_GLOBAL__N_132replication_pad_forward_kernel1dIN3c107complexIdEEEEvN5torch10headeronly6detail27GenericPackedTensorAccessorINS8_14TensorAccessorINS3_8ArrayRefIlEEKT_Lm2ENS7_16DefaultPtrTraitsElEENS_6detail16IndexBoundsCheckILm3ElEESE_Lm3ESF_lEENS9_INSA_ISC_SD_Lm2ESF_lEESJ_SD_Lm3ESF_lEEiii.num_agpr, 0
	.set _ZN2at6native12_GLOBAL__N_132replication_pad_forward_kernel1dIN3c107complexIdEEEEvN5torch10headeronly6detail27GenericPackedTensorAccessorINS8_14TensorAccessorINS3_8ArrayRefIlEEKT_Lm2ENS7_16DefaultPtrTraitsElEENS_6detail16IndexBoundsCheckILm3ElEESE_Lm3ESF_lEENS9_INSA_ISC_SD_Lm2ESF_lEESJ_SD_Lm3ESF_lEEiii.numbered_sgpr, 19
	.set _ZN2at6native12_GLOBAL__N_132replication_pad_forward_kernel1dIN3c107complexIdEEEEvN5torch10headeronly6detail27GenericPackedTensorAccessorINS8_14TensorAccessorINS3_8ArrayRefIlEEKT_Lm2ENS7_16DefaultPtrTraitsElEENS_6detail16IndexBoundsCheckILm3ElEESE_Lm3ESF_lEENS9_INSA_ISC_SD_Lm2ESF_lEESJ_SD_Lm3ESF_lEEiii.num_named_barrier, 0
	.set _ZN2at6native12_GLOBAL__N_132replication_pad_forward_kernel1dIN3c107complexIdEEEEvN5torch10headeronly6detail27GenericPackedTensorAccessorINS8_14TensorAccessorINS3_8ArrayRefIlEEKT_Lm2ENS7_16DefaultPtrTraitsElEENS_6detail16IndexBoundsCheckILm3ElEESE_Lm3ESF_lEENS9_INSA_ISC_SD_Lm2ESF_lEESJ_SD_Lm3ESF_lEEiii.private_seg_size, 0
	.set _ZN2at6native12_GLOBAL__N_132replication_pad_forward_kernel1dIN3c107complexIdEEEEvN5torch10headeronly6detail27GenericPackedTensorAccessorINS8_14TensorAccessorINS3_8ArrayRefIlEEKT_Lm2ENS7_16DefaultPtrTraitsElEENS_6detail16IndexBoundsCheckILm3ElEESE_Lm3ESF_lEENS9_INSA_ISC_SD_Lm2ESF_lEESJ_SD_Lm3ESF_lEEiii.uses_vcc, 1
	.set _ZN2at6native12_GLOBAL__N_132replication_pad_forward_kernel1dIN3c107complexIdEEEEvN5torch10headeronly6detail27GenericPackedTensorAccessorINS8_14TensorAccessorINS3_8ArrayRefIlEEKT_Lm2ENS7_16DefaultPtrTraitsElEENS_6detail16IndexBoundsCheckILm3ElEESE_Lm3ESF_lEENS9_INSA_ISC_SD_Lm2ESF_lEESJ_SD_Lm3ESF_lEEiii.uses_flat_scratch, 0
	.set _ZN2at6native12_GLOBAL__N_132replication_pad_forward_kernel1dIN3c107complexIdEEEEvN5torch10headeronly6detail27GenericPackedTensorAccessorINS8_14TensorAccessorINS3_8ArrayRefIlEEKT_Lm2ENS7_16DefaultPtrTraitsElEENS_6detail16IndexBoundsCheckILm3ElEESE_Lm3ESF_lEENS9_INSA_ISC_SD_Lm2ESF_lEESJ_SD_Lm3ESF_lEEiii.has_dyn_sized_stack, 0
	.set _ZN2at6native12_GLOBAL__N_132replication_pad_forward_kernel1dIN3c107complexIdEEEEvN5torch10headeronly6detail27GenericPackedTensorAccessorINS8_14TensorAccessorINS3_8ArrayRefIlEEKT_Lm2ENS7_16DefaultPtrTraitsElEENS_6detail16IndexBoundsCheckILm3ElEESE_Lm3ESF_lEENS9_INSA_ISC_SD_Lm2ESF_lEESJ_SD_Lm3ESF_lEEiii.has_recursion, 0
	.set _ZN2at6native12_GLOBAL__N_132replication_pad_forward_kernel1dIN3c107complexIdEEEEvN5torch10headeronly6detail27GenericPackedTensorAccessorINS8_14TensorAccessorINS3_8ArrayRefIlEEKT_Lm2ENS7_16DefaultPtrTraitsElEENS_6detail16IndexBoundsCheckILm3ElEESE_Lm3ESF_lEENS9_INSA_ISC_SD_Lm2ESF_lEESJ_SD_Lm3ESF_lEEiii.has_indirect_call, 0
	.section	.AMDGPU.csdata,"",@progbits
; Kernel info:
; codeLenInByte = 1140
; TotalNumSgprs: 21
; NumVgprs: 10
; ScratchSize: 0
; MemoryBound: 0
; FloatMode: 240
; IeeeMode: 1
; LDSByteSize: 0 bytes/workgroup (compile time only)
; SGPRBlocks: 0
; VGPRBlocks: 0
; NumSGPRsForWavesPerEU: 21
; NumVGPRsForWavesPerEU: 10
; NamedBarCnt: 0
; Occupancy: 16
; WaveLimiterHint : 1
; COMPUTE_PGM_RSRC2:SCRATCH_EN: 0
; COMPUTE_PGM_RSRC2:USER_SGPR: 2
; COMPUTE_PGM_RSRC2:TRAP_HANDLER: 0
; COMPUTE_PGM_RSRC2:TGID_X_EN: 1
; COMPUTE_PGM_RSRC2:TGID_Y_EN: 1
; COMPUTE_PGM_RSRC2:TGID_Z_EN: 1
; COMPUTE_PGM_RSRC2:TIDIG_COMP_CNT: 0
	.section	.text._ZN2at6native12_GLOBAL__N_132replication_pad_forward_kernel1dIN3c107complexIfEEEEvN5torch10headeronly6detail27GenericPackedTensorAccessorINS8_14TensorAccessorINS3_8ArrayRefIlEEKT_Lm2ENS7_16DefaultPtrTraitsElEENS_6detail16IndexBoundsCheckILm3ElEESE_Lm3ESF_lEENS9_INSA_ISC_SD_Lm2ESF_lEESJ_SD_Lm3ESF_lEEiii,"axG",@progbits,_ZN2at6native12_GLOBAL__N_132replication_pad_forward_kernel1dIN3c107complexIfEEEEvN5torch10headeronly6detail27GenericPackedTensorAccessorINS8_14TensorAccessorINS3_8ArrayRefIlEEKT_Lm2ENS7_16DefaultPtrTraitsElEENS_6detail16IndexBoundsCheckILm3ElEESE_Lm3ESF_lEENS9_INSA_ISC_SD_Lm2ESF_lEESJ_SD_Lm3ESF_lEEiii,comdat
	.globl	_ZN2at6native12_GLOBAL__N_132replication_pad_forward_kernel1dIN3c107complexIfEEEEvN5torch10headeronly6detail27GenericPackedTensorAccessorINS8_14TensorAccessorINS3_8ArrayRefIlEEKT_Lm2ENS7_16DefaultPtrTraitsElEENS_6detail16IndexBoundsCheckILm3ElEESE_Lm3ESF_lEENS9_INSA_ISC_SD_Lm2ESF_lEESJ_SD_Lm3ESF_lEEiii ; -- Begin function _ZN2at6native12_GLOBAL__N_132replication_pad_forward_kernel1dIN3c107complexIfEEEEvN5torch10headeronly6detail27GenericPackedTensorAccessorINS8_14TensorAccessorINS3_8ArrayRefIlEEKT_Lm2ENS7_16DefaultPtrTraitsElEENS_6detail16IndexBoundsCheckILm3ElEESE_Lm3ESF_lEENS9_INSA_ISC_SD_Lm2ESF_lEESJ_SD_Lm3ESF_lEEiii
	.p2align	8
	.type	_ZN2at6native12_GLOBAL__N_132replication_pad_forward_kernel1dIN3c107complexIfEEEEvN5torch10headeronly6detail27GenericPackedTensorAccessorINS8_14TensorAccessorINS3_8ArrayRefIlEEKT_Lm2ENS7_16DefaultPtrTraitsElEENS_6detail16IndexBoundsCheckILm3ElEESE_Lm3ESF_lEENS9_INSA_ISC_SD_Lm2ESF_lEESJ_SD_Lm3ESF_lEEiii,@function
_ZN2at6native12_GLOBAL__N_132replication_pad_forward_kernel1dIN3c107complexIfEEEEvN5torch10headeronly6detail27GenericPackedTensorAccessorINS8_14TensorAccessorINS3_8ArrayRefIlEEKT_Lm2ENS7_16DefaultPtrTraitsElEENS_6detail16IndexBoundsCheckILm3ElEESE_Lm3ESF_lEENS9_INSA_ISC_SD_Lm2ESF_lEESJ_SD_Lm3ESF_lEEiii: ; @_ZN2at6native12_GLOBAL__N_132replication_pad_forward_kernel1dIN3c107complexIfEEEEvN5torch10headeronly6detail27GenericPackedTensorAccessorINS8_14TensorAccessorINS3_8ArrayRefIlEEKT_Lm2ENS7_16DefaultPtrTraitsElEENS_6detail16IndexBoundsCheckILm3ElEESE_Lm3ESF_lEENS9_INSA_ISC_SD_Lm2ESF_lEESJ_SD_Lm3ESF_lEEiii
; %bb.0:
	s_clause 0x1
	s_load_b32 s2, s[0:1], 0x8c
	s_load_b64 s[4:5], s[0:1], 0x50
	s_bfe_u32 s3, ttmp6, 0x4000c
	v_mov_b32_e32 v2, 0
	s_add_co_i32 s7, s3, 1
	s_and_b32 s6, ttmp6, 15
	s_mul_i32 s7, ttmp9, s7
	s_getreg_b32 s3, hwreg(HW_REG_IB_STS2, 6, 4)
	v_mov_b32_e32 v1, v2
	s_add_co_i32 s6, s6, s7
	s_wait_kmcnt 0x0
	s_and_b32 s2, s2, 0xffff
	s_cmp_eq_u32 s3, 0
	s_cselect_b32 s6, ttmp9, s6
	s_delay_alu instid0(SALU_CYCLE_1) | instskip(SKIP_1) | instid1(VALU_DEP_1)
	v_mad_nc_u64_u32 v[0:1], s2, s6, v[0:1]
	s_mov_b32 s2, exec_lo
	v_cmpx_gt_i64_e64 s[4:5], v[0:1]
	s_cbranch_execz .LBB20_6
; %bb.1:
	v_or_b32_e32 v3, s5, v1
	s_delay_alu instid0(VALU_DEP_1) | instskip(SKIP_1) | instid1(SALU_CYCLE_1)
	v_cmp_ne_u64_e32 vcc_lo, 0, v[2:3]
                                        ; implicit-def: $vgpr2_vgpr3
	s_and_saveexec_b32 s2, vcc_lo
	s_xor_b32 s6, exec_lo, s2
	s_cbranch_execz .LBB20_3
; %bb.2:
	s_cvt_f32_u32 s2, s4
	s_cvt_f32_u32 s7, s5
	s_sub_nc_u64 s[10:11], 0, s[4:5]
	s_mov_b32 s15, 0
	v_dual_mov_b32 v3, 0 :: v_dual_mov_b32 v2, v0
	s_fmamk_f32 s2, s7, 0x4f800000, s2
	s_delay_alu instid0(SALU_CYCLE_3) | instskip(NEXT) | instid1(TRANS32_DEP_1)
	v_s_rcp_f32 s2, s2
	s_mul_f32 s2, s2, 0x5f7ffffc
	s_delay_alu instid0(SALU_CYCLE_3) | instskip(NEXT) | instid1(SALU_CYCLE_3)
	s_mul_f32 s7, s2, 0x2f800000
	s_trunc_f32 s7, s7
	s_delay_alu instid0(SALU_CYCLE_3) | instskip(SKIP_1) | instid1(SALU_CYCLE_2)
	s_fmamk_f32 s2, s7, 0xcf800000, s2
	s_cvt_u32_f32 s9, s7
	s_cvt_u32_f32 s8, s2
	s_delay_alu instid0(SALU_CYCLE_3) | instskip(NEXT) | instid1(SALU_CYCLE_1)
	s_mul_u64 s[12:13], s[10:11], s[8:9]
	s_mul_hi_u32 s17, s8, s13
	s_mul_i32 s16, s8, s13
	s_mul_hi_u32 s14, s8, s12
	s_mul_i32 s7, s9, s12
	s_add_nc_u64 s[16:17], s[14:15], s[16:17]
	s_mul_hi_u32 s2, s9, s12
	s_mul_hi_u32 s18, s9, s13
	s_add_co_u32 s7, s16, s7
	s_add_co_ci_u32 s14, s17, s2
	s_mul_i32 s12, s9, s13
	s_add_co_ci_u32 s13, s18, 0
	s_delay_alu instid0(SALU_CYCLE_1) | instskip(NEXT) | instid1(SALU_CYCLE_1)
	s_add_nc_u64 s[12:13], s[14:15], s[12:13]
	s_add_co_u32 s8, s8, s12
	s_cselect_b32 s2, -1, 0
	s_delay_alu instid0(SALU_CYCLE_1) | instskip(SKIP_1) | instid1(SALU_CYCLE_1)
	s_cmp_lg_u32 s2, 0
	s_add_co_ci_u32 s9, s9, s13
	s_mul_u64 s[10:11], s[10:11], s[8:9]
	s_delay_alu instid0(SALU_CYCLE_1)
	s_mul_hi_u32 s13, s8, s11
	s_mul_i32 s12, s8, s11
	s_mul_hi_u32 s14, s8, s10
	s_mul_i32 s7, s9, s10
	s_add_nc_u64 s[12:13], s[14:15], s[12:13]
	s_mul_hi_u32 s2, s9, s10
	s_mul_hi_u32 s16, s9, s11
	s_add_co_u32 s7, s12, s7
	s_add_co_ci_u32 s14, s13, s2
	s_mul_i32 s10, s9, s11
	s_add_co_ci_u32 s11, s16, 0
	s_delay_alu instid0(SALU_CYCLE_1) | instskip(NEXT) | instid1(SALU_CYCLE_1)
	s_add_nc_u64 s[10:11], s[14:15], s[10:11]
	s_add_co_u32 s2, s8, s10
	s_cselect_b32 s7, -1, 0
	s_delay_alu instid0(SALU_CYCLE_1)
	s_cmp_lg_u32 s7, 0
	s_add_co_ci_u32 s14, s9, s11
	s_mov_b64 s[8:9], 0xffffffff
	v_mul_u64_e32 v[4:5], s[14:15], v[2:3]
	v_mul_hi_u32 v2, v0, s2
	s_and_b64 s[8:9], s[2:3], s[8:9]
	s_delay_alu instid0(VALU_DEP_1) | instskip(SKIP_1) | instid1(VALU_DEP_1)
	v_add_nc_u64_e32 v[4:5], v[2:3], v[4:5]
	v_mov_b32_e32 v2, v1
	v_mul_u64_e32 v[6:7], s[8:9], v[2:3]
	v_mul_u64_e32 v[8:9], s[14:15], v[2:3]
	s_delay_alu instid0(VALU_DEP_2) | instskip(NEXT) | instid1(VALU_DEP_3)
	v_add_co_u32 v2, vcc_lo, v4, v6
	v_add_co_ci_u32_e32 v2, vcc_lo, v5, v7, vcc_lo
	s_delay_alu instid0(VALU_DEP_3) | instskip(NEXT) | instid1(VALU_DEP_1)
	v_add_co_ci_u32_e32 v9, vcc_lo, 0, v9, vcc_lo
	v_add_nc_u64_e32 v[2:3], v[2:3], v[8:9]
	s_delay_alu instid0(VALU_DEP_1) | instskip(NEXT) | instid1(VALU_DEP_1)
	v_mul_u64_e32 v[2:3], s[4:5], v[2:3]
	v_sub_nc_u32_e32 v4, v1, v3
	s_delay_alu instid0(VALU_DEP_2) | instskip(NEXT) | instid1(VALU_DEP_1)
	v_sub_co_u32 v0, vcc_lo, v0, v2
	v_sub_co_ci_u32_e64 v1, null, v1, v3, vcc_lo
	s_delay_alu instid0(VALU_DEP_3) | instskip(NEXT) | instid1(VALU_DEP_3)
	v_subrev_co_ci_u32_e64 v2, null, s5, v4, vcc_lo
	v_sub_co_u32 v3, vcc_lo, v0, s4
	v_cmp_le_u32_e64 s2, s4, v0
	s_delay_alu instid0(VALU_DEP_3) | instskip(SKIP_1) | instid1(VALU_DEP_3)
	v_subrev_co_ci_u32_e64 v4, null, 0, v2, vcc_lo
	v_subrev_co_ci_u32_e64 v2, null, s5, v2, vcc_lo
	v_cndmask_b32_e64 v5, 0, -1, s2
	v_cmp_le_u32_e64 s2, s4, v3
	v_cmp_le_u32_e32 vcc_lo, s5, v1
	s_delay_alu instid0(VALU_DEP_2) | instskip(SKIP_3) | instid1(VALU_DEP_3)
	v_cndmask_b32_e64 v6, 0, -1, s2
	v_cmp_le_u32_e64 s2, s5, v4
	v_cndmask_b32_e64 v8, 0, -1, vcc_lo
	v_cmp_eq_u32_e32 vcc_lo, s5, v4
	v_cndmask_b32_e64 v7, 0, -1, s2
	v_cmp_eq_u32_e64 s2, s5, v1
	s_delay_alu instid0(VALU_DEP_1) | instskip(SKIP_1) | instid1(VALU_DEP_1)
	v_dual_cndmask_b32 v6, v7, v6, vcc_lo :: v_dual_cndmask_b32 v5, v8, v5, s2
	v_sub_co_u32 v7, vcc_lo, v3, s4
	v_subrev_co_ci_u32_e64 v2, null, 0, v2, vcc_lo
	s_delay_alu instid0(VALU_DEP_3) | instskip(NEXT) | instid1(VALU_DEP_2)
	v_cmp_ne_u32_e32 vcc_lo, 0, v6
	v_dual_cndmask_b32 v2, v4, v2, vcc_lo :: v_dual_cndmask_b32 v4, v3, v7, vcc_lo
	v_cmp_ne_u32_e32 vcc_lo, 0, v5
	s_delay_alu instid0(VALU_DEP_2)
	v_dual_cndmask_b32 v3, v1, v2 :: v_dual_cndmask_b32 v2, v0, v4
                                        ; implicit-def: $vgpr0_vgpr1
.LBB20_3:
	s_and_not1_saveexec_b32 s2, s6
	s_cbranch_execz .LBB20_5
; %bb.4:
	v_cvt_f32_u32_e32 v1, s4
	s_sub_co_i32 s5, 0, s4
	v_mov_b32_e32 v3, 0
	s_delay_alu instid0(VALU_DEP_2) | instskip(SKIP_1) | instid1(TRANS32_DEP_1)
	v_rcp_iflag_f32_e32 v1, v1
	v_nop
	v_mul_f32_e32 v1, 0x4f7ffffe, v1
	s_delay_alu instid0(VALU_DEP_1) | instskip(NEXT) | instid1(VALU_DEP_1)
	v_cvt_u32_f32_e32 v1, v1
	v_mul_lo_u32 v2, s5, v1
	s_delay_alu instid0(VALU_DEP_1) | instskip(NEXT) | instid1(VALU_DEP_1)
	v_mul_hi_u32 v2, v1, v2
	v_add_nc_u32_e32 v1, v1, v2
	s_delay_alu instid0(VALU_DEP_1) | instskip(NEXT) | instid1(VALU_DEP_1)
	v_mul_hi_u32 v1, v0, v1
	v_mul_lo_u32 v1, v1, s4
	s_delay_alu instid0(VALU_DEP_1) | instskip(NEXT) | instid1(VALU_DEP_1)
	v_sub_nc_u32_e32 v0, v0, v1
	v_subrev_nc_u32_e32 v1, s4, v0
	v_cmp_le_u32_e32 vcc_lo, s4, v0
	s_delay_alu instid0(VALU_DEP_2) | instskip(NEXT) | instid1(VALU_DEP_1)
	v_cndmask_b32_e32 v0, v0, v1, vcc_lo
	v_subrev_nc_u32_e32 v1, s4, v0
	v_cmp_le_u32_e32 vcc_lo, s4, v0
	s_delay_alu instid0(VALU_DEP_2)
	v_cndmask_b32_e32 v2, v0, v1, vcc_lo
.LBB20_5:
	s_or_b32 exec_lo, exec_lo, s2
	s_clause 0x1
	s_load_b96 s[12:14], s[0:1], 0x70
	s_load_b256 s[4:11], s[0:1], 0x18
	s_bfe_u32 s2, ttmp6, 0x40014
	s_bfe_u32 s15, ttmp6, 0x40010
	s_wait_kmcnt 0x0
	s_lshr_b32 s5, ttmp7, 16
	s_add_co_i32 s2, s2, 1
	s_and_b32 s16, ttmp7, 0xffff
	s_add_co_i32 s15, s15, 1
	s_mul_i32 s2, s5, s2
	s_bfe_u32 s17, ttmp6, 0x40008
	s_mul_i32 s15, s16, s15
	s_bfe_u32 s18, ttmp6, 0x40004
	s_add_co_i32 s17, s17, s2
	s_add_co_i32 s18, s18, s15
	s_cmp_eq_u32 s3, 0
	s_load_b64 s[2:3], s[0:1], 0x68
	s_cselect_b32 s15, s16, s18
	s_cselect_b32 s16, s5, s17
	s_sub_co_i32 s5, 0, s12
	s_add_co_i32 s4, s12, s4
	s_max_i32 s5, s5, 0
	s_add_co_i32 s4, s4, -1
	s_delay_alu instid0(SALU_CYCLE_1)
	v_maxmin_i32 v0, s12, v2, s4
	s_max_i32 s4, s12, 0
	s_add_co_i32 s12, s13, s15
	s_sub_co_i32 s4, s5, s4
	s_delay_alu instid0(VALU_DEP_1) | instid1(SALU_CYCLE_1)
	v_add_nc_u32_e32 v0, s4, v0
	s_load_b64 s[4:5], s[0:1], 0x0
	s_wait_kmcnt 0x0
	v_mul_u64_e32 v[2:3], s[2:3], v[2:3]
	s_delay_alu instid0(VALU_DEP_2) | instskip(NEXT) | instid1(VALU_DEP_1)
	v_ashrrev_i32_e32 v1, 31, v0
	v_mul_u64_e32 v[0:1], s[10:11], v[0:1]
	s_mov_b32 s11, 0
	s_add_co_i32 s10, s14, s16
	s_mov_b32 s13, s11
	s_mul_u64 s[6:7], s[6:7], s[10:11]
	s_mul_u64 s[8:9], s[8:9], s[12:13]
	s_lshl_b64 s[6:7], s[6:7], 3
	s_delay_alu instid0(SALU_CYCLE_1) | instskip(SKIP_1) | instid1(SALU_CYCLE_1)
	s_add_nc_u64 s[4:5], s[4:5], s[6:7]
	s_lshl_b64 s[6:7], s[8:9], 3
	s_add_nc_u64 s[4:5], s[4:5], s[6:7]
	s_delay_alu instid0(VALU_DEP_1) | instid1(SALU_CYCLE_1)
	v_lshl_add_u64 v[0:1], v[0:1], 3, s[4:5]
	global_load_b64 v[0:1], v[0:1], off
	s_clause 0x1
	s_load_b128 s[4:7], s[0:1], 0x58
	s_load_b64 s[2:3], s[0:1], 0x38
	s_wait_kmcnt 0x0
	s_mul_u64 s[0:1], s[4:5], s[10:11]
	s_mul_u64 s[4:5], s[6:7], s[12:13]
	s_lshl_b64 s[0:1], s[0:1], 3
	s_delay_alu instid0(SALU_CYCLE_1) | instskip(SKIP_1) | instid1(SALU_CYCLE_1)
	s_add_nc_u64 s[0:1], s[2:3], s[0:1]
	s_lshl_b64 s[2:3], s[4:5], 3
	s_add_nc_u64 s[0:1], s[0:1], s[2:3]
	s_delay_alu instid0(SALU_CYCLE_1)
	v_lshl_add_u64 v[2:3], v[2:3], 3, s[0:1]
	s_wait_loadcnt 0x0
	global_store_b64 v[2:3], v[0:1], off
.LBB20_6:
	s_endpgm
	.section	.rodata,"a",@progbits
	.p2align	6, 0x0
	.amdhsa_kernel _ZN2at6native12_GLOBAL__N_132replication_pad_forward_kernel1dIN3c107complexIfEEEEvN5torch10headeronly6detail27GenericPackedTensorAccessorINS8_14TensorAccessorINS3_8ArrayRefIlEEKT_Lm2ENS7_16DefaultPtrTraitsElEENS_6detail16IndexBoundsCheckILm3ElEESE_Lm3ESF_lEENS9_INSA_ISC_SD_Lm2ESF_lEESJ_SD_Lm3ESF_lEEiii
		.amdhsa_group_segment_fixed_size 0
		.amdhsa_private_segment_fixed_size 0
		.amdhsa_kernarg_size 384
		.amdhsa_user_sgpr_count 2
		.amdhsa_user_sgpr_dispatch_ptr 0
		.amdhsa_user_sgpr_queue_ptr 0
		.amdhsa_user_sgpr_kernarg_segment_ptr 1
		.amdhsa_user_sgpr_dispatch_id 0
		.amdhsa_user_sgpr_kernarg_preload_length 0
		.amdhsa_user_sgpr_kernarg_preload_offset 0
		.amdhsa_user_sgpr_private_segment_size 0
		.amdhsa_wavefront_size32 1
		.amdhsa_uses_dynamic_stack 0
		.amdhsa_enable_private_segment 0
		.amdhsa_system_sgpr_workgroup_id_x 1
		.amdhsa_system_sgpr_workgroup_id_y 1
		.amdhsa_system_sgpr_workgroup_id_z 1
		.amdhsa_system_sgpr_workgroup_info 0
		.amdhsa_system_vgpr_workitem_id 0
		.amdhsa_next_free_vgpr 10
		.amdhsa_next_free_sgpr 19
		.amdhsa_named_barrier_count 0
		.amdhsa_reserve_vcc 1
		.amdhsa_float_round_mode_32 0
		.amdhsa_float_round_mode_16_64 0
		.amdhsa_float_denorm_mode_32 3
		.amdhsa_float_denorm_mode_16_64 3
		.amdhsa_fp16_overflow 0
		.amdhsa_memory_ordered 1
		.amdhsa_forward_progress 1
		.amdhsa_inst_pref_size 9
		.amdhsa_round_robin_scheduling 0
		.amdhsa_exception_fp_ieee_invalid_op 0
		.amdhsa_exception_fp_denorm_src 0
		.amdhsa_exception_fp_ieee_div_zero 0
		.amdhsa_exception_fp_ieee_overflow 0
		.amdhsa_exception_fp_ieee_underflow 0
		.amdhsa_exception_fp_ieee_inexact 0
		.amdhsa_exception_int_div_zero 0
	.end_amdhsa_kernel
	.section	.text._ZN2at6native12_GLOBAL__N_132replication_pad_forward_kernel1dIN3c107complexIfEEEEvN5torch10headeronly6detail27GenericPackedTensorAccessorINS8_14TensorAccessorINS3_8ArrayRefIlEEKT_Lm2ENS7_16DefaultPtrTraitsElEENS_6detail16IndexBoundsCheckILm3ElEESE_Lm3ESF_lEENS9_INSA_ISC_SD_Lm2ESF_lEESJ_SD_Lm3ESF_lEEiii,"axG",@progbits,_ZN2at6native12_GLOBAL__N_132replication_pad_forward_kernel1dIN3c107complexIfEEEEvN5torch10headeronly6detail27GenericPackedTensorAccessorINS8_14TensorAccessorINS3_8ArrayRefIlEEKT_Lm2ENS7_16DefaultPtrTraitsElEENS_6detail16IndexBoundsCheckILm3ElEESE_Lm3ESF_lEENS9_INSA_ISC_SD_Lm2ESF_lEESJ_SD_Lm3ESF_lEEiii,comdat
.Lfunc_end20:
	.size	_ZN2at6native12_GLOBAL__N_132replication_pad_forward_kernel1dIN3c107complexIfEEEEvN5torch10headeronly6detail27GenericPackedTensorAccessorINS8_14TensorAccessorINS3_8ArrayRefIlEEKT_Lm2ENS7_16DefaultPtrTraitsElEENS_6detail16IndexBoundsCheckILm3ElEESE_Lm3ESF_lEENS9_INSA_ISC_SD_Lm2ESF_lEESJ_SD_Lm3ESF_lEEiii, .Lfunc_end20-_ZN2at6native12_GLOBAL__N_132replication_pad_forward_kernel1dIN3c107complexIfEEEEvN5torch10headeronly6detail27GenericPackedTensorAccessorINS8_14TensorAccessorINS3_8ArrayRefIlEEKT_Lm2ENS7_16DefaultPtrTraitsElEENS_6detail16IndexBoundsCheckILm3ElEESE_Lm3ESF_lEENS9_INSA_ISC_SD_Lm2ESF_lEESJ_SD_Lm3ESF_lEEiii
                                        ; -- End function
	.set _ZN2at6native12_GLOBAL__N_132replication_pad_forward_kernel1dIN3c107complexIfEEEEvN5torch10headeronly6detail27GenericPackedTensorAccessorINS8_14TensorAccessorINS3_8ArrayRefIlEEKT_Lm2ENS7_16DefaultPtrTraitsElEENS_6detail16IndexBoundsCheckILm3ElEESE_Lm3ESF_lEENS9_INSA_ISC_SD_Lm2ESF_lEESJ_SD_Lm3ESF_lEEiii.num_vgpr, 10
	.set _ZN2at6native12_GLOBAL__N_132replication_pad_forward_kernel1dIN3c107complexIfEEEEvN5torch10headeronly6detail27GenericPackedTensorAccessorINS8_14TensorAccessorINS3_8ArrayRefIlEEKT_Lm2ENS7_16DefaultPtrTraitsElEENS_6detail16IndexBoundsCheckILm3ElEESE_Lm3ESF_lEENS9_INSA_ISC_SD_Lm2ESF_lEESJ_SD_Lm3ESF_lEEiii.num_agpr, 0
	.set _ZN2at6native12_GLOBAL__N_132replication_pad_forward_kernel1dIN3c107complexIfEEEEvN5torch10headeronly6detail27GenericPackedTensorAccessorINS8_14TensorAccessorINS3_8ArrayRefIlEEKT_Lm2ENS7_16DefaultPtrTraitsElEENS_6detail16IndexBoundsCheckILm3ElEESE_Lm3ESF_lEENS9_INSA_ISC_SD_Lm2ESF_lEESJ_SD_Lm3ESF_lEEiii.numbered_sgpr, 19
	.set _ZN2at6native12_GLOBAL__N_132replication_pad_forward_kernel1dIN3c107complexIfEEEEvN5torch10headeronly6detail27GenericPackedTensorAccessorINS8_14TensorAccessorINS3_8ArrayRefIlEEKT_Lm2ENS7_16DefaultPtrTraitsElEENS_6detail16IndexBoundsCheckILm3ElEESE_Lm3ESF_lEENS9_INSA_ISC_SD_Lm2ESF_lEESJ_SD_Lm3ESF_lEEiii.num_named_barrier, 0
	.set _ZN2at6native12_GLOBAL__N_132replication_pad_forward_kernel1dIN3c107complexIfEEEEvN5torch10headeronly6detail27GenericPackedTensorAccessorINS8_14TensorAccessorINS3_8ArrayRefIlEEKT_Lm2ENS7_16DefaultPtrTraitsElEENS_6detail16IndexBoundsCheckILm3ElEESE_Lm3ESF_lEENS9_INSA_ISC_SD_Lm2ESF_lEESJ_SD_Lm3ESF_lEEiii.private_seg_size, 0
	.set _ZN2at6native12_GLOBAL__N_132replication_pad_forward_kernel1dIN3c107complexIfEEEEvN5torch10headeronly6detail27GenericPackedTensorAccessorINS8_14TensorAccessorINS3_8ArrayRefIlEEKT_Lm2ENS7_16DefaultPtrTraitsElEENS_6detail16IndexBoundsCheckILm3ElEESE_Lm3ESF_lEENS9_INSA_ISC_SD_Lm2ESF_lEESJ_SD_Lm3ESF_lEEiii.uses_vcc, 1
	.set _ZN2at6native12_GLOBAL__N_132replication_pad_forward_kernel1dIN3c107complexIfEEEEvN5torch10headeronly6detail27GenericPackedTensorAccessorINS8_14TensorAccessorINS3_8ArrayRefIlEEKT_Lm2ENS7_16DefaultPtrTraitsElEENS_6detail16IndexBoundsCheckILm3ElEESE_Lm3ESF_lEENS9_INSA_ISC_SD_Lm2ESF_lEESJ_SD_Lm3ESF_lEEiii.uses_flat_scratch, 0
	.set _ZN2at6native12_GLOBAL__N_132replication_pad_forward_kernel1dIN3c107complexIfEEEEvN5torch10headeronly6detail27GenericPackedTensorAccessorINS8_14TensorAccessorINS3_8ArrayRefIlEEKT_Lm2ENS7_16DefaultPtrTraitsElEENS_6detail16IndexBoundsCheckILm3ElEESE_Lm3ESF_lEENS9_INSA_ISC_SD_Lm2ESF_lEESJ_SD_Lm3ESF_lEEiii.has_dyn_sized_stack, 0
	.set _ZN2at6native12_GLOBAL__N_132replication_pad_forward_kernel1dIN3c107complexIfEEEEvN5torch10headeronly6detail27GenericPackedTensorAccessorINS8_14TensorAccessorINS3_8ArrayRefIlEEKT_Lm2ENS7_16DefaultPtrTraitsElEENS_6detail16IndexBoundsCheckILm3ElEESE_Lm3ESF_lEENS9_INSA_ISC_SD_Lm2ESF_lEESJ_SD_Lm3ESF_lEEiii.has_recursion, 0
	.set _ZN2at6native12_GLOBAL__N_132replication_pad_forward_kernel1dIN3c107complexIfEEEEvN5torch10headeronly6detail27GenericPackedTensorAccessorINS8_14TensorAccessorINS3_8ArrayRefIlEEKT_Lm2ENS7_16DefaultPtrTraitsElEENS_6detail16IndexBoundsCheckILm3ElEESE_Lm3ESF_lEENS9_INSA_ISC_SD_Lm2ESF_lEESJ_SD_Lm3ESF_lEEiii.has_indirect_call, 0
	.section	.AMDGPU.csdata,"",@progbits
; Kernel info:
; codeLenInByte = 1136
; TotalNumSgprs: 21
; NumVgprs: 10
; ScratchSize: 0
; MemoryBound: 0
; FloatMode: 240
; IeeeMode: 1
; LDSByteSize: 0 bytes/workgroup (compile time only)
; SGPRBlocks: 0
; VGPRBlocks: 0
; NumSGPRsForWavesPerEU: 21
; NumVGPRsForWavesPerEU: 10
; NamedBarCnt: 0
; Occupancy: 16
; WaveLimiterHint : 1
; COMPUTE_PGM_RSRC2:SCRATCH_EN: 0
; COMPUTE_PGM_RSRC2:USER_SGPR: 2
; COMPUTE_PGM_RSRC2:TRAP_HANDLER: 0
; COMPUTE_PGM_RSRC2:TGID_X_EN: 1
; COMPUTE_PGM_RSRC2:TGID_Y_EN: 1
; COMPUTE_PGM_RSRC2:TGID_Z_EN: 1
; COMPUTE_PGM_RSRC2:TIDIG_COMP_CNT: 0
	.section	.text._ZN2at6native12_GLOBAL__N_132replication_pad_forward_kernel1dIN3c104HalfEEEvN5torch10headeronly6detail27GenericPackedTensorAccessorINS7_14TensorAccessorINS3_8ArrayRefIlEEKT_Lm2ENS6_16DefaultPtrTraitsElEENS_6detail16IndexBoundsCheckILm3ElEESD_Lm3ESE_lEENS8_INS9_ISB_SC_Lm2ESE_lEESI_SC_Lm3ESE_lEEiii,"axG",@progbits,_ZN2at6native12_GLOBAL__N_132replication_pad_forward_kernel1dIN3c104HalfEEEvN5torch10headeronly6detail27GenericPackedTensorAccessorINS7_14TensorAccessorINS3_8ArrayRefIlEEKT_Lm2ENS6_16DefaultPtrTraitsElEENS_6detail16IndexBoundsCheckILm3ElEESD_Lm3ESE_lEENS8_INS9_ISB_SC_Lm2ESE_lEESI_SC_Lm3ESE_lEEiii,comdat
	.globl	_ZN2at6native12_GLOBAL__N_132replication_pad_forward_kernel1dIN3c104HalfEEEvN5torch10headeronly6detail27GenericPackedTensorAccessorINS7_14TensorAccessorINS3_8ArrayRefIlEEKT_Lm2ENS6_16DefaultPtrTraitsElEENS_6detail16IndexBoundsCheckILm3ElEESD_Lm3ESE_lEENS8_INS9_ISB_SC_Lm2ESE_lEESI_SC_Lm3ESE_lEEiii ; -- Begin function _ZN2at6native12_GLOBAL__N_132replication_pad_forward_kernel1dIN3c104HalfEEEvN5torch10headeronly6detail27GenericPackedTensorAccessorINS7_14TensorAccessorINS3_8ArrayRefIlEEKT_Lm2ENS6_16DefaultPtrTraitsElEENS_6detail16IndexBoundsCheckILm3ElEESD_Lm3ESE_lEENS8_INS9_ISB_SC_Lm2ESE_lEESI_SC_Lm3ESE_lEEiii
	.p2align	8
	.type	_ZN2at6native12_GLOBAL__N_132replication_pad_forward_kernel1dIN3c104HalfEEEvN5torch10headeronly6detail27GenericPackedTensorAccessorINS7_14TensorAccessorINS3_8ArrayRefIlEEKT_Lm2ENS6_16DefaultPtrTraitsElEENS_6detail16IndexBoundsCheckILm3ElEESD_Lm3ESE_lEENS8_INS9_ISB_SC_Lm2ESE_lEESI_SC_Lm3ESE_lEEiii,@function
_ZN2at6native12_GLOBAL__N_132replication_pad_forward_kernel1dIN3c104HalfEEEvN5torch10headeronly6detail27GenericPackedTensorAccessorINS7_14TensorAccessorINS3_8ArrayRefIlEEKT_Lm2ENS6_16DefaultPtrTraitsElEENS_6detail16IndexBoundsCheckILm3ElEESD_Lm3ESE_lEENS8_INS9_ISB_SC_Lm2ESE_lEESI_SC_Lm3ESE_lEEiii: ; @_ZN2at6native12_GLOBAL__N_132replication_pad_forward_kernel1dIN3c104HalfEEEvN5torch10headeronly6detail27GenericPackedTensorAccessorINS7_14TensorAccessorINS3_8ArrayRefIlEEKT_Lm2ENS6_16DefaultPtrTraitsElEENS_6detail16IndexBoundsCheckILm3ElEESD_Lm3ESE_lEENS8_INS9_ISB_SC_Lm2ESE_lEESI_SC_Lm3ESE_lEEiii
; %bb.0:
	s_clause 0x1
	s_load_b32 s2, s[0:1], 0x8c
	s_load_b64 s[4:5], s[0:1], 0x50
	s_bfe_u32 s3, ttmp6, 0x4000c
	v_mov_b32_e32 v2, 0
	s_add_co_i32 s7, s3, 1
	s_and_b32 s6, ttmp6, 15
	s_mul_i32 s7, ttmp9, s7
	s_getreg_b32 s3, hwreg(HW_REG_IB_STS2, 6, 4)
	v_mov_b32_e32 v1, v2
	s_add_co_i32 s6, s6, s7
	s_wait_kmcnt 0x0
	s_and_b32 s2, s2, 0xffff
	s_cmp_eq_u32 s3, 0
	s_cselect_b32 s6, ttmp9, s6
	s_delay_alu instid0(SALU_CYCLE_1) | instskip(SKIP_1) | instid1(VALU_DEP_1)
	v_mad_nc_u64_u32 v[0:1], s2, s6, v[0:1]
	s_mov_b32 s2, exec_lo
	v_cmpx_gt_i64_e64 s[4:5], v[0:1]
	s_cbranch_execz .LBB21_6
; %bb.1:
	v_or_b32_e32 v3, s5, v1
	s_delay_alu instid0(VALU_DEP_1) | instskip(SKIP_1) | instid1(SALU_CYCLE_1)
	v_cmp_ne_u64_e32 vcc_lo, 0, v[2:3]
                                        ; implicit-def: $vgpr2_vgpr3
	s_and_saveexec_b32 s2, vcc_lo
	s_xor_b32 s6, exec_lo, s2
	s_cbranch_execz .LBB21_3
; %bb.2:
	s_cvt_f32_u32 s2, s4
	s_cvt_f32_u32 s7, s5
	s_sub_nc_u64 s[10:11], 0, s[4:5]
	s_mov_b32 s15, 0
	v_dual_mov_b32 v3, 0 :: v_dual_mov_b32 v2, v0
	s_fmamk_f32 s2, s7, 0x4f800000, s2
	s_delay_alu instid0(SALU_CYCLE_3) | instskip(NEXT) | instid1(TRANS32_DEP_1)
	v_s_rcp_f32 s2, s2
	s_mul_f32 s2, s2, 0x5f7ffffc
	s_delay_alu instid0(SALU_CYCLE_3) | instskip(NEXT) | instid1(SALU_CYCLE_3)
	s_mul_f32 s7, s2, 0x2f800000
	s_trunc_f32 s7, s7
	s_delay_alu instid0(SALU_CYCLE_3) | instskip(SKIP_1) | instid1(SALU_CYCLE_2)
	s_fmamk_f32 s2, s7, 0xcf800000, s2
	s_cvt_u32_f32 s9, s7
	s_cvt_u32_f32 s8, s2
	s_delay_alu instid0(SALU_CYCLE_3) | instskip(NEXT) | instid1(SALU_CYCLE_1)
	s_mul_u64 s[12:13], s[10:11], s[8:9]
	s_mul_hi_u32 s17, s8, s13
	s_mul_i32 s16, s8, s13
	s_mul_hi_u32 s14, s8, s12
	s_mul_i32 s7, s9, s12
	s_add_nc_u64 s[16:17], s[14:15], s[16:17]
	s_mul_hi_u32 s2, s9, s12
	s_mul_hi_u32 s18, s9, s13
	s_add_co_u32 s7, s16, s7
	s_add_co_ci_u32 s14, s17, s2
	s_mul_i32 s12, s9, s13
	s_add_co_ci_u32 s13, s18, 0
	s_delay_alu instid0(SALU_CYCLE_1) | instskip(NEXT) | instid1(SALU_CYCLE_1)
	s_add_nc_u64 s[12:13], s[14:15], s[12:13]
	s_add_co_u32 s8, s8, s12
	s_cselect_b32 s2, -1, 0
	s_delay_alu instid0(SALU_CYCLE_1) | instskip(SKIP_1) | instid1(SALU_CYCLE_1)
	s_cmp_lg_u32 s2, 0
	s_add_co_ci_u32 s9, s9, s13
	s_mul_u64 s[10:11], s[10:11], s[8:9]
	s_delay_alu instid0(SALU_CYCLE_1)
	s_mul_hi_u32 s13, s8, s11
	s_mul_i32 s12, s8, s11
	s_mul_hi_u32 s14, s8, s10
	s_mul_i32 s7, s9, s10
	s_add_nc_u64 s[12:13], s[14:15], s[12:13]
	s_mul_hi_u32 s2, s9, s10
	s_mul_hi_u32 s16, s9, s11
	s_add_co_u32 s7, s12, s7
	s_add_co_ci_u32 s14, s13, s2
	s_mul_i32 s10, s9, s11
	s_add_co_ci_u32 s11, s16, 0
	s_delay_alu instid0(SALU_CYCLE_1) | instskip(NEXT) | instid1(SALU_CYCLE_1)
	s_add_nc_u64 s[10:11], s[14:15], s[10:11]
	s_add_co_u32 s2, s8, s10
	s_cselect_b32 s7, -1, 0
	s_delay_alu instid0(SALU_CYCLE_1)
	s_cmp_lg_u32 s7, 0
	s_add_co_ci_u32 s14, s9, s11
	s_mov_b64 s[8:9], 0xffffffff
	v_mul_u64_e32 v[4:5], s[14:15], v[2:3]
	v_mul_hi_u32 v2, v0, s2
	s_and_b64 s[8:9], s[2:3], s[8:9]
	s_delay_alu instid0(VALU_DEP_1) | instskip(SKIP_1) | instid1(VALU_DEP_1)
	v_add_nc_u64_e32 v[4:5], v[2:3], v[4:5]
	v_mov_b32_e32 v2, v1
	v_mul_u64_e32 v[6:7], s[8:9], v[2:3]
	v_mul_u64_e32 v[8:9], s[14:15], v[2:3]
	s_delay_alu instid0(VALU_DEP_2) | instskip(NEXT) | instid1(VALU_DEP_3)
	v_add_co_u32 v2, vcc_lo, v4, v6
	v_add_co_ci_u32_e32 v2, vcc_lo, v5, v7, vcc_lo
	s_delay_alu instid0(VALU_DEP_3) | instskip(NEXT) | instid1(VALU_DEP_1)
	v_add_co_ci_u32_e32 v9, vcc_lo, 0, v9, vcc_lo
	v_add_nc_u64_e32 v[2:3], v[2:3], v[8:9]
	s_delay_alu instid0(VALU_DEP_1) | instskip(NEXT) | instid1(VALU_DEP_1)
	v_mul_u64_e32 v[2:3], s[4:5], v[2:3]
	v_sub_nc_u32_e32 v4, v1, v3
	s_delay_alu instid0(VALU_DEP_2) | instskip(NEXT) | instid1(VALU_DEP_1)
	v_sub_co_u32 v0, vcc_lo, v0, v2
	v_sub_co_ci_u32_e64 v1, null, v1, v3, vcc_lo
	s_delay_alu instid0(VALU_DEP_3) | instskip(NEXT) | instid1(VALU_DEP_3)
	v_subrev_co_ci_u32_e64 v2, null, s5, v4, vcc_lo
	v_sub_co_u32 v3, vcc_lo, v0, s4
	v_cmp_le_u32_e64 s2, s4, v0
	s_delay_alu instid0(VALU_DEP_3) | instskip(SKIP_1) | instid1(VALU_DEP_3)
	v_subrev_co_ci_u32_e64 v4, null, 0, v2, vcc_lo
	v_subrev_co_ci_u32_e64 v2, null, s5, v2, vcc_lo
	v_cndmask_b32_e64 v5, 0, -1, s2
	v_cmp_le_u32_e64 s2, s4, v3
	v_cmp_le_u32_e32 vcc_lo, s5, v1
	s_delay_alu instid0(VALU_DEP_2) | instskip(SKIP_3) | instid1(VALU_DEP_3)
	v_cndmask_b32_e64 v6, 0, -1, s2
	v_cmp_le_u32_e64 s2, s5, v4
	v_cndmask_b32_e64 v8, 0, -1, vcc_lo
	v_cmp_eq_u32_e32 vcc_lo, s5, v4
	v_cndmask_b32_e64 v7, 0, -1, s2
	v_cmp_eq_u32_e64 s2, s5, v1
	s_delay_alu instid0(VALU_DEP_1) | instskip(SKIP_1) | instid1(VALU_DEP_1)
	v_dual_cndmask_b32 v6, v7, v6, vcc_lo :: v_dual_cndmask_b32 v5, v8, v5, s2
	v_sub_co_u32 v7, vcc_lo, v3, s4
	v_subrev_co_ci_u32_e64 v2, null, 0, v2, vcc_lo
	s_delay_alu instid0(VALU_DEP_3) | instskip(NEXT) | instid1(VALU_DEP_2)
	v_cmp_ne_u32_e32 vcc_lo, 0, v6
	v_dual_cndmask_b32 v2, v4, v2, vcc_lo :: v_dual_cndmask_b32 v4, v3, v7, vcc_lo
	v_cmp_ne_u32_e32 vcc_lo, 0, v5
	s_delay_alu instid0(VALU_DEP_2)
	v_dual_cndmask_b32 v3, v1, v2 :: v_dual_cndmask_b32 v2, v0, v4
                                        ; implicit-def: $vgpr0_vgpr1
.LBB21_3:
	s_and_not1_saveexec_b32 s2, s6
	s_cbranch_execz .LBB21_5
; %bb.4:
	v_cvt_f32_u32_e32 v1, s4
	s_sub_co_i32 s5, 0, s4
	v_mov_b32_e32 v3, 0
	s_delay_alu instid0(VALU_DEP_2) | instskip(SKIP_1) | instid1(TRANS32_DEP_1)
	v_rcp_iflag_f32_e32 v1, v1
	v_nop
	v_mul_f32_e32 v1, 0x4f7ffffe, v1
	s_delay_alu instid0(VALU_DEP_1) | instskip(NEXT) | instid1(VALU_DEP_1)
	v_cvt_u32_f32_e32 v1, v1
	v_mul_lo_u32 v2, s5, v1
	s_delay_alu instid0(VALU_DEP_1) | instskip(NEXT) | instid1(VALU_DEP_1)
	v_mul_hi_u32 v2, v1, v2
	v_add_nc_u32_e32 v1, v1, v2
	s_delay_alu instid0(VALU_DEP_1) | instskip(NEXT) | instid1(VALU_DEP_1)
	v_mul_hi_u32 v1, v0, v1
	v_mul_lo_u32 v1, v1, s4
	s_delay_alu instid0(VALU_DEP_1) | instskip(NEXT) | instid1(VALU_DEP_1)
	v_sub_nc_u32_e32 v0, v0, v1
	v_subrev_nc_u32_e32 v1, s4, v0
	v_cmp_le_u32_e32 vcc_lo, s4, v0
	s_delay_alu instid0(VALU_DEP_2) | instskip(NEXT) | instid1(VALU_DEP_1)
	v_cndmask_b32_e32 v0, v0, v1, vcc_lo
	v_subrev_nc_u32_e32 v1, s4, v0
	v_cmp_le_u32_e32 vcc_lo, s4, v0
	s_delay_alu instid0(VALU_DEP_2)
	v_cndmask_b32_e32 v2, v0, v1, vcc_lo
.LBB21_5:
	s_or_b32 exec_lo, exec_lo, s2
	s_clause 0x1
	s_load_b96 s[12:14], s[0:1], 0x70
	s_load_b256 s[4:11], s[0:1], 0x18
	s_bfe_u32 s2, ttmp6, 0x40014
	s_bfe_u32 s15, ttmp6, 0x40010
	s_wait_kmcnt 0x0
	s_lshr_b32 s5, ttmp7, 16
	s_add_co_i32 s2, s2, 1
	s_and_b32 s16, ttmp7, 0xffff
	s_add_co_i32 s15, s15, 1
	s_mul_i32 s2, s5, s2
	s_bfe_u32 s17, ttmp6, 0x40008
	s_mul_i32 s15, s16, s15
	s_bfe_u32 s18, ttmp6, 0x40004
	s_add_co_i32 s17, s17, s2
	s_add_co_i32 s18, s18, s15
	s_cmp_eq_u32 s3, 0
	s_load_b64 s[2:3], s[0:1], 0x68
	s_cselect_b32 s15, s16, s18
	s_cselect_b32 s16, s5, s17
	s_sub_co_i32 s5, 0, s12
	s_add_co_i32 s4, s12, s4
	s_max_i32 s5, s5, 0
	s_add_co_i32 s4, s4, -1
	s_delay_alu instid0(SALU_CYCLE_1)
	v_maxmin_i32 v0, s12, v2, s4
	s_max_i32 s4, s12, 0
	s_add_co_i32 s12, s13, s15
	s_sub_co_i32 s4, s5, s4
	s_delay_alu instid0(VALU_DEP_1) | instid1(SALU_CYCLE_1)
	v_add_nc_u32_e32 v0, s4, v0
	s_load_b64 s[4:5], s[0:1], 0x0
	s_delay_alu instid0(VALU_DEP_1) | instskip(NEXT) | instid1(VALU_DEP_1)
	v_ashrrev_i32_e32 v1, 31, v0
	v_mul_u64_e32 v[0:1], s[10:11], v[0:1]
	s_mov_b32 s11, 0
	s_add_co_i32 s10, s14, s16
	s_mov_b32 s13, s11
	s_mul_u64 s[6:7], s[6:7], s[10:11]
	s_mul_u64 s[8:9], s[8:9], s[12:13]
	s_lshl_b64 s[6:7], s[6:7], 1
	s_wait_kmcnt 0x0
	s_add_nc_u64 s[4:5], s[4:5], s[6:7]
	s_lshl_b64 s[6:7], s[8:9], 1
	s_delay_alu instid0(SALU_CYCLE_1)
	s_add_nc_u64 s[4:5], s[4:5], s[6:7]
	s_delay_alu instid0(VALU_DEP_1) | instid1(SALU_CYCLE_1)
	v_lshl_add_u64 v[0:1], v[0:1], 1, s[4:5]
	global_load_u16 v4, v[0:1], off
	s_wait_xcnt 0x0
	v_mul_u64_e32 v[0:1], s[2:3], v[2:3]
	s_clause 0x1
	s_load_b128 s[4:7], s[0:1], 0x58
	s_load_b64 s[2:3], s[0:1], 0x38
	s_wait_kmcnt 0x0
	s_mul_u64 s[0:1], s[4:5], s[10:11]
	s_mul_u64 s[4:5], s[6:7], s[12:13]
	s_lshl_b64 s[0:1], s[0:1], 1
	s_delay_alu instid0(SALU_CYCLE_1) | instskip(SKIP_1) | instid1(SALU_CYCLE_1)
	s_add_nc_u64 s[0:1], s[2:3], s[0:1]
	s_lshl_b64 s[2:3], s[4:5], 1
	s_add_nc_u64 s[0:1], s[0:1], s[2:3]
	s_delay_alu instid0(VALU_DEP_1) | instid1(SALU_CYCLE_1)
	v_lshl_add_u64 v[0:1], v[0:1], 1, s[0:1]
	s_wait_loadcnt 0x0
	global_store_b16 v[0:1], v4, off
.LBB21_6:
	s_endpgm
	.section	.rodata,"a",@progbits
	.p2align	6, 0x0
	.amdhsa_kernel _ZN2at6native12_GLOBAL__N_132replication_pad_forward_kernel1dIN3c104HalfEEEvN5torch10headeronly6detail27GenericPackedTensorAccessorINS7_14TensorAccessorINS3_8ArrayRefIlEEKT_Lm2ENS6_16DefaultPtrTraitsElEENS_6detail16IndexBoundsCheckILm3ElEESD_Lm3ESE_lEENS8_INS9_ISB_SC_Lm2ESE_lEESI_SC_Lm3ESE_lEEiii
		.amdhsa_group_segment_fixed_size 0
		.amdhsa_private_segment_fixed_size 0
		.amdhsa_kernarg_size 384
		.amdhsa_user_sgpr_count 2
		.amdhsa_user_sgpr_dispatch_ptr 0
		.amdhsa_user_sgpr_queue_ptr 0
		.amdhsa_user_sgpr_kernarg_segment_ptr 1
		.amdhsa_user_sgpr_dispatch_id 0
		.amdhsa_user_sgpr_kernarg_preload_length 0
		.amdhsa_user_sgpr_kernarg_preload_offset 0
		.amdhsa_user_sgpr_private_segment_size 0
		.amdhsa_wavefront_size32 1
		.amdhsa_uses_dynamic_stack 0
		.amdhsa_enable_private_segment 0
		.amdhsa_system_sgpr_workgroup_id_x 1
		.amdhsa_system_sgpr_workgroup_id_y 1
		.amdhsa_system_sgpr_workgroup_id_z 1
		.amdhsa_system_sgpr_workgroup_info 0
		.amdhsa_system_vgpr_workitem_id 0
		.amdhsa_next_free_vgpr 10
		.amdhsa_next_free_sgpr 19
		.amdhsa_named_barrier_count 0
		.amdhsa_reserve_vcc 1
		.amdhsa_float_round_mode_32 0
		.amdhsa_float_round_mode_16_64 0
		.amdhsa_float_denorm_mode_32 3
		.amdhsa_float_denorm_mode_16_64 3
		.amdhsa_fp16_overflow 0
		.amdhsa_memory_ordered 1
		.amdhsa_forward_progress 1
		.amdhsa_inst_pref_size 9
		.amdhsa_round_robin_scheduling 0
		.amdhsa_exception_fp_ieee_invalid_op 0
		.amdhsa_exception_fp_denorm_src 0
		.amdhsa_exception_fp_ieee_div_zero 0
		.amdhsa_exception_fp_ieee_overflow 0
		.amdhsa_exception_fp_ieee_underflow 0
		.amdhsa_exception_fp_ieee_inexact 0
		.amdhsa_exception_int_div_zero 0
	.end_amdhsa_kernel
	.section	.text._ZN2at6native12_GLOBAL__N_132replication_pad_forward_kernel1dIN3c104HalfEEEvN5torch10headeronly6detail27GenericPackedTensorAccessorINS7_14TensorAccessorINS3_8ArrayRefIlEEKT_Lm2ENS6_16DefaultPtrTraitsElEENS_6detail16IndexBoundsCheckILm3ElEESD_Lm3ESE_lEENS8_INS9_ISB_SC_Lm2ESE_lEESI_SC_Lm3ESE_lEEiii,"axG",@progbits,_ZN2at6native12_GLOBAL__N_132replication_pad_forward_kernel1dIN3c104HalfEEEvN5torch10headeronly6detail27GenericPackedTensorAccessorINS7_14TensorAccessorINS3_8ArrayRefIlEEKT_Lm2ENS6_16DefaultPtrTraitsElEENS_6detail16IndexBoundsCheckILm3ElEESD_Lm3ESE_lEENS8_INS9_ISB_SC_Lm2ESE_lEESI_SC_Lm3ESE_lEEiii,comdat
.Lfunc_end21:
	.size	_ZN2at6native12_GLOBAL__N_132replication_pad_forward_kernel1dIN3c104HalfEEEvN5torch10headeronly6detail27GenericPackedTensorAccessorINS7_14TensorAccessorINS3_8ArrayRefIlEEKT_Lm2ENS6_16DefaultPtrTraitsElEENS_6detail16IndexBoundsCheckILm3ElEESD_Lm3ESE_lEENS8_INS9_ISB_SC_Lm2ESE_lEESI_SC_Lm3ESE_lEEiii, .Lfunc_end21-_ZN2at6native12_GLOBAL__N_132replication_pad_forward_kernel1dIN3c104HalfEEEvN5torch10headeronly6detail27GenericPackedTensorAccessorINS7_14TensorAccessorINS3_8ArrayRefIlEEKT_Lm2ENS6_16DefaultPtrTraitsElEENS_6detail16IndexBoundsCheckILm3ElEESD_Lm3ESE_lEENS8_INS9_ISB_SC_Lm2ESE_lEESI_SC_Lm3ESE_lEEiii
                                        ; -- End function
	.set _ZN2at6native12_GLOBAL__N_132replication_pad_forward_kernel1dIN3c104HalfEEEvN5torch10headeronly6detail27GenericPackedTensorAccessorINS7_14TensorAccessorINS3_8ArrayRefIlEEKT_Lm2ENS6_16DefaultPtrTraitsElEENS_6detail16IndexBoundsCheckILm3ElEESD_Lm3ESE_lEENS8_INS9_ISB_SC_Lm2ESE_lEESI_SC_Lm3ESE_lEEiii.num_vgpr, 10
	.set _ZN2at6native12_GLOBAL__N_132replication_pad_forward_kernel1dIN3c104HalfEEEvN5torch10headeronly6detail27GenericPackedTensorAccessorINS7_14TensorAccessorINS3_8ArrayRefIlEEKT_Lm2ENS6_16DefaultPtrTraitsElEENS_6detail16IndexBoundsCheckILm3ElEESD_Lm3ESE_lEENS8_INS9_ISB_SC_Lm2ESE_lEESI_SC_Lm3ESE_lEEiii.num_agpr, 0
	.set _ZN2at6native12_GLOBAL__N_132replication_pad_forward_kernel1dIN3c104HalfEEEvN5torch10headeronly6detail27GenericPackedTensorAccessorINS7_14TensorAccessorINS3_8ArrayRefIlEEKT_Lm2ENS6_16DefaultPtrTraitsElEENS_6detail16IndexBoundsCheckILm3ElEESD_Lm3ESE_lEENS8_INS9_ISB_SC_Lm2ESE_lEESI_SC_Lm3ESE_lEEiii.numbered_sgpr, 19
	.set _ZN2at6native12_GLOBAL__N_132replication_pad_forward_kernel1dIN3c104HalfEEEvN5torch10headeronly6detail27GenericPackedTensorAccessorINS7_14TensorAccessorINS3_8ArrayRefIlEEKT_Lm2ENS6_16DefaultPtrTraitsElEENS_6detail16IndexBoundsCheckILm3ElEESD_Lm3ESE_lEENS8_INS9_ISB_SC_Lm2ESE_lEESI_SC_Lm3ESE_lEEiii.num_named_barrier, 0
	.set _ZN2at6native12_GLOBAL__N_132replication_pad_forward_kernel1dIN3c104HalfEEEvN5torch10headeronly6detail27GenericPackedTensorAccessorINS7_14TensorAccessorINS3_8ArrayRefIlEEKT_Lm2ENS6_16DefaultPtrTraitsElEENS_6detail16IndexBoundsCheckILm3ElEESD_Lm3ESE_lEENS8_INS9_ISB_SC_Lm2ESE_lEESI_SC_Lm3ESE_lEEiii.private_seg_size, 0
	.set _ZN2at6native12_GLOBAL__N_132replication_pad_forward_kernel1dIN3c104HalfEEEvN5torch10headeronly6detail27GenericPackedTensorAccessorINS7_14TensorAccessorINS3_8ArrayRefIlEEKT_Lm2ENS6_16DefaultPtrTraitsElEENS_6detail16IndexBoundsCheckILm3ElEESD_Lm3ESE_lEENS8_INS9_ISB_SC_Lm2ESE_lEESI_SC_Lm3ESE_lEEiii.uses_vcc, 1
	.set _ZN2at6native12_GLOBAL__N_132replication_pad_forward_kernel1dIN3c104HalfEEEvN5torch10headeronly6detail27GenericPackedTensorAccessorINS7_14TensorAccessorINS3_8ArrayRefIlEEKT_Lm2ENS6_16DefaultPtrTraitsElEENS_6detail16IndexBoundsCheckILm3ElEESD_Lm3ESE_lEENS8_INS9_ISB_SC_Lm2ESE_lEESI_SC_Lm3ESE_lEEiii.uses_flat_scratch, 0
	.set _ZN2at6native12_GLOBAL__N_132replication_pad_forward_kernel1dIN3c104HalfEEEvN5torch10headeronly6detail27GenericPackedTensorAccessorINS7_14TensorAccessorINS3_8ArrayRefIlEEKT_Lm2ENS6_16DefaultPtrTraitsElEENS_6detail16IndexBoundsCheckILm3ElEESD_Lm3ESE_lEENS8_INS9_ISB_SC_Lm2ESE_lEESI_SC_Lm3ESE_lEEiii.has_dyn_sized_stack, 0
	.set _ZN2at6native12_GLOBAL__N_132replication_pad_forward_kernel1dIN3c104HalfEEEvN5torch10headeronly6detail27GenericPackedTensorAccessorINS7_14TensorAccessorINS3_8ArrayRefIlEEKT_Lm2ENS6_16DefaultPtrTraitsElEENS_6detail16IndexBoundsCheckILm3ElEESD_Lm3ESE_lEENS8_INS9_ISB_SC_Lm2ESE_lEESI_SC_Lm3ESE_lEEiii.has_recursion, 0
	.set _ZN2at6native12_GLOBAL__N_132replication_pad_forward_kernel1dIN3c104HalfEEEvN5torch10headeronly6detail27GenericPackedTensorAccessorINS7_14TensorAccessorINS3_8ArrayRefIlEEKT_Lm2ENS6_16DefaultPtrTraitsElEENS_6detail16IndexBoundsCheckILm3ElEESD_Lm3ESE_lEENS8_INS9_ISB_SC_Lm2ESE_lEESI_SC_Lm3ESE_lEEiii.has_indirect_call, 0
	.section	.AMDGPU.csdata,"",@progbits
; Kernel info:
; codeLenInByte = 1140
; TotalNumSgprs: 21
; NumVgprs: 10
; ScratchSize: 0
; MemoryBound: 0
; FloatMode: 240
; IeeeMode: 1
; LDSByteSize: 0 bytes/workgroup (compile time only)
; SGPRBlocks: 0
; VGPRBlocks: 0
; NumSGPRsForWavesPerEU: 21
; NumVGPRsForWavesPerEU: 10
; NamedBarCnt: 0
; Occupancy: 16
; WaveLimiterHint : 1
; COMPUTE_PGM_RSRC2:SCRATCH_EN: 0
; COMPUTE_PGM_RSRC2:USER_SGPR: 2
; COMPUTE_PGM_RSRC2:TRAP_HANDLER: 0
; COMPUTE_PGM_RSRC2:TGID_X_EN: 1
; COMPUTE_PGM_RSRC2:TGID_Y_EN: 1
; COMPUTE_PGM_RSRC2:TGID_Z_EN: 1
; COMPUTE_PGM_RSRC2:TIDIG_COMP_CNT: 0
	.section	.text._ZN2at6native12_GLOBAL__N_132replication_pad_forward_kernel1dIN3c108BFloat16EEEvN5torch10headeronly6detail27GenericPackedTensorAccessorINS7_14TensorAccessorINS3_8ArrayRefIlEEKT_Lm2ENS6_16DefaultPtrTraitsElEENS_6detail16IndexBoundsCheckILm3ElEESD_Lm3ESE_lEENS8_INS9_ISB_SC_Lm2ESE_lEESI_SC_Lm3ESE_lEEiii,"axG",@progbits,_ZN2at6native12_GLOBAL__N_132replication_pad_forward_kernel1dIN3c108BFloat16EEEvN5torch10headeronly6detail27GenericPackedTensorAccessorINS7_14TensorAccessorINS3_8ArrayRefIlEEKT_Lm2ENS6_16DefaultPtrTraitsElEENS_6detail16IndexBoundsCheckILm3ElEESD_Lm3ESE_lEENS8_INS9_ISB_SC_Lm2ESE_lEESI_SC_Lm3ESE_lEEiii,comdat
	.globl	_ZN2at6native12_GLOBAL__N_132replication_pad_forward_kernel1dIN3c108BFloat16EEEvN5torch10headeronly6detail27GenericPackedTensorAccessorINS7_14TensorAccessorINS3_8ArrayRefIlEEKT_Lm2ENS6_16DefaultPtrTraitsElEENS_6detail16IndexBoundsCheckILm3ElEESD_Lm3ESE_lEENS8_INS9_ISB_SC_Lm2ESE_lEESI_SC_Lm3ESE_lEEiii ; -- Begin function _ZN2at6native12_GLOBAL__N_132replication_pad_forward_kernel1dIN3c108BFloat16EEEvN5torch10headeronly6detail27GenericPackedTensorAccessorINS7_14TensorAccessorINS3_8ArrayRefIlEEKT_Lm2ENS6_16DefaultPtrTraitsElEENS_6detail16IndexBoundsCheckILm3ElEESD_Lm3ESE_lEENS8_INS9_ISB_SC_Lm2ESE_lEESI_SC_Lm3ESE_lEEiii
	.p2align	8
	.type	_ZN2at6native12_GLOBAL__N_132replication_pad_forward_kernel1dIN3c108BFloat16EEEvN5torch10headeronly6detail27GenericPackedTensorAccessorINS7_14TensorAccessorINS3_8ArrayRefIlEEKT_Lm2ENS6_16DefaultPtrTraitsElEENS_6detail16IndexBoundsCheckILm3ElEESD_Lm3ESE_lEENS8_INS9_ISB_SC_Lm2ESE_lEESI_SC_Lm3ESE_lEEiii,@function
_ZN2at6native12_GLOBAL__N_132replication_pad_forward_kernel1dIN3c108BFloat16EEEvN5torch10headeronly6detail27GenericPackedTensorAccessorINS7_14TensorAccessorINS3_8ArrayRefIlEEKT_Lm2ENS6_16DefaultPtrTraitsElEENS_6detail16IndexBoundsCheckILm3ElEESD_Lm3ESE_lEENS8_INS9_ISB_SC_Lm2ESE_lEESI_SC_Lm3ESE_lEEiii: ; @_ZN2at6native12_GLOBAL__N_132replication_pad_forward_kernel1dIN3c108BFloat16EEEvN5torch10headeronly6detail27GenericPackedTensorAccessorINS7_14TensorAccessorINS3_8ArrayRefIlEEKT_Lm2ENS6_16DefaultPtrTraitsElEENS_6detail16IndexBoundsCheckILm3ElEESD_Lm3ESE_lEENS8_INS9_ISB_SC_Lm2ESE_lEESI_SC_Lm3ESE_lEEiii
; %bb.0:
	s_clause 0x1
	s_load_b32 s2, s[0:1], 0x8c
	s_load_b64 s[4:5], s[0:1], 0x50
	s_bfe_u32 s3, ttmp6, 0x4000c
	v_mov_b32_e32 v2, 0
	s_add_co_i32 s7, s3, 1
	s_and_b32 s6, ttmp6, 15
	s_mul_i32 s7, ttmp9, s7
	s_getreg_b32 s3, hwreg(HW_REG_IB_STS2, 6, 4)
	v_mov_b32_e32 v1, v2
	s_add_co_i32 s6, s6, s7
	s_wait_kmcnt 0x0
	s_and_b32 s2, s2, 0xffff
	s_cmp_eq_u32 s3, 0
	s_cselect_b32 s6, ttmp9, s6
	s_delay_alu instid0(SALU_CYCLE_1) | instskip(SKIP_1) | instid1(VALU_DEP_1)
	v_mad_nc_u64_u32 v[0:1], s2, s6, v[0:1]
	s_mov_b32 s2, exec_lo
	v_cmpx_gt_i64_e64 s[4:5], v[0:1]
	s_cbranch_execz .LBB22_6
; %bb.1:
	v_or_b32_e32 v3, s5, v1
	s_delay_alu instid0(VALU_DEP_1) | instskip(SKIP_1) | instid1(SALU_CYCLE_1)
	v_cmp_ne_u64_e32 vcc_lo, 0, v[2:3]
                                        ; implicit-def: $vgpr2_vgpr3
	s_and_saveexec_b32 s2, vcc_lo
	s_xor_b32 s6, exec_lo, s2
	s_cbranch_execz .LBB22_3
; %bb.2:
	s_cvt_f32_u32 s2, s4
	s_cvt_f32_u32 s7, s5
	s_sub_nc_u64 s[10:11], 0, s[4:5]
	s_mov_b32 s15, 0
	v_dual_mov_b32 v3, 0 :: v_dual_mov_b32 v2, v0
	s_fmamk_f32 s2, s7, 0x4f800000, s2
	s_delay_alu instid0(SALU_CYCLE_3) | instskip(NEXT) | instid1(TRANS32_DEP_1)
	v_s_rcp_f32 s2, s2
	s_mul_f32 s2, s2, 0x5f7ffffc
	s_delay_alu instid0(SALU_CYCLE_3) | instskip(NEXT) | instid1(SALU_CYCLE_3)
	s_mul_f32 s7, s2, 0x2f800000
	s_trunc_f32 s7, s7
	s_delay_alu instid0(SALU_CYCLE_3) | instskip(SKIP_1) | instid1(SALU_CYCLE_2)
	s_fmamk_f32 s2, s7, 0xcf800000, s2
	s_cvt_u32_f32 s9, s7
	s_cvt_u32_f32 s8, s2
	s_delay_alu instid0(SALU_CYCLE_3) | instskip(NEXT) | instid1(SALU_CYCLE_1)
	s_mul_u64 s[12:13], s[10:11], s[8:9]
	s_mul_hi_u32 s17, s8, s13
	s_mul_i32 s16, s8, s13
	s_mul_hi_u32 s14, s8, s12
	s_mul_i32 s7, s9, s12
	s_add_nc_u64 s[16:17], s[14:15], s[16:17]
	s_mul_hi_u32 s2, s9, s12
	s_mul_hi_u32 s18, s9, s13
	s_add_co_u32 s7, s16, s7
	s_add_co_ci_u32 s14, s17, s2
	s_mul_i32 s12, s9, s13
	s_add_co_ci_u32 s13, s18, 0
	s_delay_alu instid0(SALU_CYCLE_1) | instskip(NEXT) | instid1(SALU_CYCLE_1)
	s_add_nc_u64 s[12:13], s[14:15], s[12:13]
	s_add_co_u32 s8, s8, s12
	s_cselect_b32 s2, -1, 0
	s_delay_alu instid0(SALU_CYCLE_1) | instskip(SKIP_1) | instid1(SALU_CYCLE_1)
	s_cmp_lg_u32 s2, 0
	s_add_co_ci_u32 s9, s9, s13
	s_mul_u64 s[10:11], s[10:11], s[8:9]
	s_delay_alu instid0(SALU_CYCLE_1)
	s_mul_hi_u32 s13, s8, s11
	s_mul_i32 s12, s8, s11
	s_mul_hi_u32 s14, s8, s10
	s_mul_i32 s7, s9, s10
	s_add_nc_u64 s[12:13], s[14:15], s[12:13]
	s_mul_hi_u32 s2, s9, s10
	s_mul_hi_u32 s16, s9, s11
	s_add_co_u32 s7, s12, s7
	s_add_co_ci_u32 s14, s13, s2
	s_mul_i32 s10, s9, s11
	s_add_co_ci_u32 s11, s16, 0
	s_delay_alu instid0(SALU_CYCLE_1) | instskip(NEXT) | instid1(SALU_CYCLE_1)
	s_add_nc_u64 s[10:11], s[14:15], s[10:11]
	s_add_co_u32 s2, s8, s10
	s_cselect_b32 s7, -1, 0
	s_delay_alu instid0(SALU_CYCLE_1)
	s_cmp_lg_u32 s7, 0
	s_add_co_ci_u32 s14, s9, s11
	s_mov_b64 s[8:9], 0xffffffff
	v_mul_u64_e32 v[4:5], s[14:15], v[2:3]
	v_mul_hi_u32 v2, v0, s2
	s_and_b64 s[8:9], s[2:3], s[8:9]
	s_delay_alu instid0(VALU_DEP_1) | instskip(SKIP_1) | instid1(VALU_DEP_1)
	v_add_nc_u64_e32 v[4:5], v[2:3], v[4:5]
	v_mov_b32_e32 v2, v1
	v_mul_u64_e32 v[6:7], s[8:9], v[2:3]
	v_mul_u64_e32 v[8:9], s[14:15], v[2:3]
	s_delay_alu instid0(VALU_DEP_2) | instskip(NEXT) | instid1(VALU_DEP_3)
	v_add_co_u32 v2, vcc_lo, v4, v6
	v_add_co_ci_u32_e32 v2, vcc_lo, v5, v7, vcc_lo
	s_delay_alu instid0(VALU_DEP_3) | instskip(NEXT) | instid1(VALU_DEP_1)
	v_add_co_ci_u32_e32 v9, vcc_lo, 0, v9, vcc_lo
	v_add_nc_u64_e32 v[2:3], v[2:3], v[8:9]
	s_delay_alu instid0(VALU_DEP_1) | instskip(NEXT) | instid1(VALU_DEP_1)
	v_mul_u64_e32 v[2:3], s[4:5], v[2:3]
	v_sub_nc_u32_e32 v4, v1, v3
	s_delay_alu instid0(VALU_DEP_2) | instskip(NEXT) | instid1(VALU_DEP_1)
	v_sub_co_u32 v0, vcc_lo, v0, v2
	v_sub_co_ci_u32_e64 v1, null, v1, v3, vcc_lo
	s_delay_alu instid0(VALU_DEP_3) | instskip(NEXT) | instid1(VALU_DEP_3)
	v_subrev_co_ci_u32_e64 v2, null, s5, v4, vcc_lo
	v_sub_co_u32 v3, vcc_lo, v0, s4
	v_cmp_le_u32_e64 s2, s4, v0
	s_delay_alu instid0(VALU_DEP_3) | instskip(SKIP_1) | instid1(VALU_DEP_3)
	v_subrev_co_ci_u32_e64 v4, null, 0, v2, vcc_lo
	v_subrev_co_ci_u32_e64 v2, null, s5, v2, vcc_lo
	v_cndmask_b32_e64 v5, 0, -1, s2
	v_cmp_le_u32_e64 s2, s4, v3
	v_cmp_le_u32_e32 vcc_lo, s5, v1
	s_delay_alu instid0(VALU_DEP_2) | instskip(SKIP_3) | instid1(VALU_DEP_3)
	v_cndmask_b32_e64 v6, 0, -1, s2
	v_cmp_le_u32_e64 s2, s5, v4
	v_cndmask_b32_e64 v8, 0, -1, vcc_lo
	v_cmp_eq_u32_e32 vcc_lo, s5, v4
	v_cndmask_b32_e64 v7, 0, -1, s2
	v_cmp_eq_u32_e64 s2, s5, v1
	s_delay_alu instid0(VALU_DEP_1) | instskip(SKIP_1) | instid1(VALU_DEP_1)
	v_dual_cndmask_b32 v6, v7, v6, vcc_lo :: v_dual_cndmask_b32 v5, v8, v5, s2
	v_sub_co_u32 v7, vcc_lo, v3, s4
	v_subrev_co_ci_u32_e64 v2, null, 0, v2, vcc_lo
	s_delay_alu instid0(VALU_DEP_3) | instskip(NEXT) | instid1(VALU_DEP_2)
	v_cmp_ne_u32_e32 vcc_lo, 0, v6
	v_dual_cndmask_b32 v2, v4, v2, vcc_lo :: v_dual_cndmask_b32 v4, v3, v7, vcc_lo
	v_cmp_ne_u32_e32 vcc_lo, 0, v5
	s_delay_alu instid0(VALU_DEP_2)
	v_dual_cndmask_b32 v3, v1, v2 :: v_dual_cndmask_b32 v2, v0, v4
                                        ; implicit-def: $vgpr0_vgpr1
.LBB22_3:
	s_and_not1_saveexec_b32 s2, s6
	s_cbranch_execz .LBB22_5
; %bb.4:
	v_cvt_f32_u32_e32 v1, s4
	s_sub_co_i32 s5, 0, s4
	v_mov_b32_e32 v3, 0
	s_delay_alu instid0(VALU_DEP_2) | instskip(SKIP_1) | instid1(TRANS32_DEP_1)
	v_rcp_iflag_f32_e32 v1, v1
	v_nop
	v_mul_f32_e32 v1, 0x4f7ffffe, v1
	s_delay_alu instid0(VALU_DEP_1) | instskip(NEXT) | instid1(VALU_DEP_1)
	v_cvt_u32_f32_e32 v1, v1
	v_mul_lo_u32 v2, s5, v1
	s_delay_alu instid0(VALU_DEP_1) | instskip(NEXT) | instid1(VALU_DEP_1)
	v_mul_hi_u32 v2, v1, v2
	v_add_nc_u32_e32 v1, v1, v2
	s_delay_alu instid0(VALU_DEP_1) | instskip(NEXT) | instid1(VALU_DEP_1)
	v_mul_hi_u32 v1, v0, v1
	v_mul_lo_u32 v1, v1, s4
	s_delay_alu instid0(VALU_DEP_1) | instskip(NEXT) | instid1(VALU_DEP_1)
	v_sub_nc_u32_e32 v0, v0, v1
	v_subrev_nc_u32_e32 v1, s4, v0
	v_cmp_le_u32_e32 vcc_lo, s4, v0
	s_delay_alu instid0(VALU_DEP_2) | instskip(NEXT) | instid1(VALU_DEP_1)
	v_cndmask_b32_e32 v0, v0, v1, vcc_lo
	v_subrev_nc_u32_e32 v1, s4, v0
	v_cmp_le_u32_e32 vcc_lo, s4, v0
	s_delay_alu instid0(VALU_DEP_2)
	v_cndmask_b32_e32 v2, v0, v1, vcc_lo
.LBB22_5:
	s_or_b32 exec_lo, exec_lo, s2
	s_clause 0x1
	s_load_b96 s[12:14], s[0:1], 0x70
	s_load_b256 s[4:11], s[0:1], 0x18
	s_bfe_u32 s2, ttmp6, 0x40014
	s_bfe_u32 s15, ttmp6, 0x40010
	s_wait_kmcnt 0x0
	s_lshr_b32 s5, ttmp7, 16
	s_add_co_i32 s2, s2, 1
	s_and_b32 s16, ttmp7, 0xffff
	s_add_co_i32 s15, s15, 1
	s_mul_i32 s2, s5, s2
	s_bfe_u32 s17, ttmp6, 0x40008
	s_mul_i32 s15, s16, s15
	s_bfe_u32 s18, ttmp6, 0x40004
	s_add_co_i32 s17, s17, s2
	s_add_co_i32 s18, s18, s15
	s_cmp_eq_u32 s3, 0
	s_load_b64 s[2:3], s[0:1], 0x68
	s_cselect_b32 s15, s16, s18
	s_cselect_b32 s16, s5, s17
	s_sub_co_i32 s5, 0, s12
	s_add_co_i32 s4, s12, s4
	s_max_i32 s5, s5, 0
	s_add_co_i32 s4, s4, -1
	s_delay_alu instid0(SALU_CYCLE_1)
	v_maxmin_i32 v0, s12, v2, s4
	s_max_i32 s4, s12, 0
	s_add_co_i32 s12, s13, s15
	s_sub_co_i32 s4, s5, s4
	s_delay_alu instid0(VALU_DEP_1) | instid1(SALU_CYCLE_1)
	v_add_nc_u32_e32 v0, s4, v0
	s_load_b64 s[4:5], s[0:1], 0x0
	s_delay_alu instid0(VALU_DEP_1) | instskip(NEXT) | instid1(VALU_DEP_1)
	v_ashrrev_i32_e32 v1, 31, v0
	v_mul_u64_e32 v[0:1], s[10:11], v[0:1]
	s_mov_b32 s11, 0
	s_add_co_i32 s10, s14, s16
	s_mov_b32 s13, s11
	s_mul_u64 s[6:7], s[6:7], s[10:11]
	s_mul_u64 s[8:9], s[8:9], s[12:13]
	s_lshl_b64 s[6:7], s[6:7], 1
	s_wait_kmcnt 0x0
	s_add_nc_u64 s[4:5], s[4:5], s[6:7]
	s_lshl_b64 s[6:7], s[8:9], 1
	s_delay_alu instid0(SALU_CYCLE_1)
	s_add_nc_u64 s[4:5], s[4:5], s[6:7]
	s_delay_alu instid0(VALU_DEP_1) | instid1(SALU_CYCLE_1)
	v_lshl_add_u64 v[0:1], v[0:1], 1, s[4:5]
	global_load_u16 v4, v[0:1], off
	s_wait_xcnt 0x0
	v_mul_u64_e32 v[0:1], s[2:3], v[2:3]
	s_clause 0x1
	s_load_b128 s[4:7], s[0:1], 0x58
	s_load_b64 s[2:3], s[0:1], 0x38
	s_wait_kmcnt 0x0
	s_mul_u64 s[0:1], s[4:5], s[10:11]
	s_mul_u64 s[4:5], s[6:7], s[12:13]
	s_lshl_b64 s[0:1], s[0:1], 1
	s_delay_alu instid0(SALU_CYCLE_1) | instskip(SKIP_1) | instid1(SALU_CYCLE_1)
	s_add_nc_u64 s[0:1], s[2:3], s[0:1]
	s_lshl_b64 s[2:3], s[4:5], 1
	s_add_nc_u64 s[0:1], s[0:1], s[2:3]
	s_delay_alu instid0(VALU_DEP_1) | instid1(SALU_CYCLE_1)
	v_lshl_add_u64 v[0:1], v[0:1], 1, s[0:1]
	s_wait_loadcnt 0x0
	global_store_b16 v[0:1], v4, off
.LBB22_6:
	s_endpgm
	.section	.rodata,"a",@progbits
	.p2align	6, 0x0
	.amdhsa_kernel _ZN2at6native12_GLOBAL__N_132replication_pad_forward_kernel1dIN3c108BFloat16EEEvN5torch10headeronly6detail27GenericPackedTensorAccessorINS7_14TensorAccessorINS3_8ArrayRefIlEEKT_Lm2ENS6_16DefaultPtrTraitsElEENS_6detail16IndexBoundsCheckILm3ElEESD_Lm3ESE_lEENS8_INS9_ISB_SC_Lm2ESE_lEESI_SC_Lm3ESE_lEEiii
		.amdhsa_group_segment_fixed_size 0
		.amdhsa_private_segment_fixed_size 0
		.amdhsa_kernarg_size 384
		.amdhsa_user_sgpr_count 2
		.amdhsa_user_sgpr_dispatch_ptr 0
		.amdhsa_user_sgpr_queue_ptr 0
		.amdhsa_user_sgpr_kernarg_segment_ptr 1
		.amdhsa_user_sgpr_dispatch_id 0
		.amdhsa_user_sgpr_kernarg_preload_length 0
		.amdhsa_user_sgpr_kernarg_preload_offset 0
		.amdhsa_user_sgpr_private_segment_size 0
		.amdhsa_wavefront_size32 1
		.amdhsa_uses_dynamic_stack 0
		.amdhsa_enable_private_segment 0
		.amdhsa_system_sgpr_workgroup_id_x 1
		.amdhsa_system_sgpr_workgroup_id_y 1
		.amdhsa_system_sgpr_workgroup_id_z 1
		.amdhsa_system_sgpr_workgroup_info 0
		.amdhsa_system_vgpr_workitem_id 0
		.amdhsa_next_free_vgpr 10
		.amdhsa_next_free_sgpr 19
		.amdhsa_named_barrier_count 0
		.amdhsa_reserve_vcc 1
		.amdhsa_float_round_mode_32 0
		.amdhsa_float_round_mode_16_64 0
		.amdhsa_float_denorm_mode_32 3
		.amdhsa_float_denorm_mode_16_64 3
		.amdhsa_fp16_overflow 0
		.amdhsa_memory_ordered 1
		.amdhsa_forward_progress 1
		.amdhsa_inst_pref_size 9
		.amdhsa_round_robin_scheduling 0
		.amdhsa_exception_fp_ieee_invalid_op 0
		.amdhsa_exception_fp_denorm_src 0
		.amdhsa_exception_fp_ieee_div_zero 0
		.amdhsa_exception_fp_ieee_overflow 0
		.amdhsa_exception_fp_ieee_underflow 0
		.amdhsa_exception_fp_ieee_inexact 0
		.amdhsa_exception_int_div_zero 0
	.end_amdhsa_kernel
	.section	.text._ZN2at6native12_GLOBAL__N_132replication_pad_forward_kernel1dIN3c108BFloat16EEEvN5torch10headeronly6detail27GenericPackedTensorAccessorINS7_14TensorAccessorINS3_8ArrayRefIlEEKT_Lm2ENS6_16DefaultPtrTraitsElEENS_6detail16IndexBoundsCheckILm3ElEESD_Lm3ESE_lEENS8_INS9_ISB_SC_Lm2ESE_lEESI_SC_Lm3ESE_lEEiii,"axG",@progbits,_ZN2at6native12_GLOBAL__N_132replication_pad_forward_kernel1dIN3c108BFloat16EEEvN5torch10headeronly6detail27GenericPackedTensorAccessorINS7_14TensorAccessorINS3_8ArrayRefIlEEKT_Lm2ENS6_16DefaultPtrTraitsElEENS_6detail16IndexBoundsCheckILm3ElEESD_Lm3ESE_lEENS8_INS9_ISB_SC_Lm2ESE_lEESI_SC_Lm3ESE_lEEiii,comdat
.Lfunc_end22:
	.size	_ZN2at6native12_GLOBAL__N_132replication_pad_forward_kernel1dIN3c108BFloat16EEEvN5torch10headeronly6detail27GenericPackedTensorAccessorINS7_14TensorAccessorINS3_8ArrayRefIlEEKT_Lm2ENS6_16DefaultPtrTraitsElEENS_6detail16IndexBoundsCheckILm3ElEESD_Lm3ESE_lEENS8_INS9_ISB_SC_Lm2ESE_lEESI_SC_Lm3ESE_lEEiii, .Lfunc_end22-_ZN2at6native12_GLOBAL__N_132replication_pad_forward_kernel1dIN3c108BFloat16EEEvN5torch10headeronly6detail27GenericPackedTensorAccessorINS7_14TensorAccessorINS3_8ArrayRefIlEEKT_Lm2ENS6_16DefaultPtrTraitsElEENS_6detail16IndexBoundsCheckILm3ElEESD_Lm3ESE_lEENS8_INS9_ISB_SC_Lm2ESE_lEESI_SC_Lm3ESE_lEEiii
                                        ; -- End function
	.set _ZN2at6native12_GLOBAL__N_132replication_pad_forward_kernel1dIN3c108BFloat16EEEvN5torch10headeronly6detail27GenericPackedTensorAccessorINS7_14TensorAccessorINS3_8ArrayRefIlEEKT_Lm2ENS6_16DefaultPtrTraitsElEENS_6detail16IndexBoundsCheckILm3ElEESD_Lm3ESE_lEENS8_INS9_ISB_SC_Lm2ESE_lEESI_SC_Lm3ESE_lEEiii.num_vgpr, 10
	.set _ZN2at6native12_GLOBAL__N_132replication_pad_forward_kernel1dIN3c108BFloat16EEEvN5torch10headeronly6detail27GenericPackedTensorAccessorINS7_14TensorAccessorINS3_8ArrayRefIlEEKT_Lm2ENS6_16DefaultPtrTraitsElEENS_6detail16IndexBoundsCheckILm3ElEESD_Lm3ESE_lEENS8_INS9_ISB_SC_Lm2ESE_lEESI_SC_Lm3ESE_lEEiii.num_agpr, 0
	.set _ZN2at6native12_GLOBAL__N_132replication_pad_forward_kernel1dIN3c108BFloat16EEEvN5torch10headeronly6detail27GenericPackedTensorAccessorINS7_14TensorAccessorINS3_8ArrayRefIlEEKT_Lm2ENS6_16DefaultPtrTraitsElEENS_6detail16IndexBoundsCheckILm3ElEESD_Lm3ESE_lEENS8_INS9_ISB_SC_Lm2ESE_lEESI_SC_Lm3ESE_lEEiii.numbered_sgpr, 19
	.set _ZN2at6native12_GLOBAL__N_132replication_pad_forward_kernel1dIN3c108BFloat16EEEvN5torch10headeronly6detail27GenericPackedTensorAccessorINS7_14TensorAccessorINS3_8ArrayRefIlEEKT_Lm2ENS6_16DefaultPtrTraitsElEENS_6detail16IndexBoundsCheckILm3ElEESD_Lm3ESE_lEENS8_INS9_ISB_SC_Lm2ESE_lEESI_SC_Lm3ESE_lEEiii.num_named_barrier, 0
	.set _ZN2at6native12_GLOBAL__N_132replication_pad_forward_kernel1dIN3c108BFloat16EEEvN5torch10headeronly6detail27GenericPackedTensorAccessorINS7_14TensorAccessorINS3_8ArrayRefIlEEKT_Lm2ENS6_16DefaultPtrTraitsElEENS_6detail16IndexBoundsCheckILm3ElEESD_Lm3ESE_lEENS8_INS9_ISB_SC_Lm2ESE_lEESI_SC_Lm3ESE_lEEiii.private_seg_size, 0
	.set _ZN2at6native12_GLOBAL__N_132replication_pad_forward_kernel1dIN3c108BFloat16EEEvN5torch10headeronly6detail27GenericPackedTensorAccessorINS7_14TensorAccessorINS3_8ArrayRefIlEEKT_Lm2ENS6_16DefaultPtrTraitsElEENS_6detail16IndexBoundsCheckILm3ElEESD_Lm3ESE_lEENS8_INS9_ISB_SC_Lm2ESE_lEESI_SC_Lm3ESE_lEEiii.uses_vcc, 1
	.set _ZN2at6native12_GLOBAL__N_132replication_pad_forward_kernel1dIN3c108BFloat16EEEvN5torch10headeronly6detail27GenericPackedTensorAccessorINS7_14TensorAccessorINS3_8ArrayRefIlEEKT_Lm2ENS6_16DefaultPtrTraitsElEENS_6detail16IndexBoundsCheckILm3ElEESD_Lm3ESE_lEENS8_INS9_ISB_SC_Lm2ESE_lEESI_SC_Lm3ESE_lEEiii.uses_flat_scratch, 0
	.set _ZN2at6native12_GLOBAL__N_132replication_pad_forward_kernel1dIN3c108BFloat16EEEvN5torch10headeronly6detail27GenericPackedTensorAccessorINS7_14TensorAccessorINS3_8ArrayRefIlEEKT_Lm2ENS6_16DefaultPtrTraitsElEENS_6detail16IndexBoundsCheckILm3ElEESD_Lm3ESE_lEENS8_INS9_ISB_SC_Lm2ESE_lEESI_SC_Lm3ESE_lEEiii.has_dyn_sized_stack, 0
	.set _ZN2at6native12_GLOBAL__N_132replication_pad_forward_kernel1dIN3c108BFloat16EEEvN5torch10headeronly6detail27GenericPackedTensorAccessorINS7_14TensorAccessorINS3_8ArrayRefIlEEKT_Lm2ENS6_16DefaultPtrTraitsElEENS_6detail16IndexBoundsCheckILm3ElEESD_Lm3ESE_lEENS8_INS9_ISB_SC_Lm2ESE_lEESI_SC_Lm3ESE_lEEiii.has_recursion, 0
	.set _ZN2at6native12_GLOBAL__N_132replication_pad_forward_kernel1dIN3c108BFloat16EEEvN5torch10headeronly6detail27GenericPackedTensorAccessorINS7_14TensorAccessorINS3_8ArrayRefIlEEKT_Lm2ENS6_16DefaultPtrTraitsElEENS_6detail16IndexBoundsCheckILm3ElEESD_Lm3ESE_lEENS8_INS9_ISB_SC_Lm2ESE_lEESI_SC_Lm3ESE_lEEiii.has_indirect_call, 0
	.section	.AMDGPU.csdata,"",@progbits
; Kernel info:
; codeLenInByte = 1140
; TotalNumSgprs: 21
; NumVgprs: 10
; ScratchSize: 0
; MemoryBound: 0
; FloatMode: 240
; IeeeMode: 1
; LDSByteSize: 0 bytes/workgroup (compile time only)
; SGPRBlocks: 0
; VGPRBlocks: 0
; NumSGPRsForWavesPerEU: 21
; NumVGPRsForWavesPerEU: 10
; NamedBarCnt: 0
; Occupancy: 16
; WaveLimiterHint : 1
; COMPUTE_PGM_RSRC2:SCRATCH_EN: 0
; COMPUTE_PGM_RSRC2:USER_SGPR: 2
; COMPUTE_PGM_RSRC2:TRAP_HANDLER: 0
; COMPUTE_PGM_RSRC2:TGID_X_EN: 1
; COMPUTE_PGM_RSRC2:TGID_Y_EN: 1
; COMPUTE_PGM_RSRC2:TGID_Z_EN: 1
; COMPUTE_PGM_RSRC2:TIDIG_COMP_CNT: 0
	.section	.text._ZN2at6native12_GLOBAL__N_131replication_pad_backward_kernelIdEEvN5torch10headeronly6detail27GenericPackedTensorAccessorINS5_14TensorAccessorIN3c108ArrayRefIlEET_Lm2ENS4_16DefaultPtrTraitsElEENS_6detail16IndexBoundsCheckILm3ElEESB_Lm3ESC_lEENS6_INS7_ISA_KSB_Lm2ESC_lEESG_SI_Lm3ESC_lEEiii,"axG",@progbits,_ZN2at6native12_GLOBAL__N_131replication_pad_backward_kernelIdEEvN5torch10headeronly6detail27GenericPackedTensorAccessorINS5_14TensorAccessorIN3c108ArrayRefIlEET_Lm2ENS4_16DefaultPtrTraitsElEENS_6detail16IndexBoundsCheckILm3ElEESB_Lm3ESC_lEENS6_INS7_ISA_KSB_Lm2ESC_lEESG_SI_Lm3ESC_lEEiii,comdat
	.globl	_ZN2at6native12_GLOBAL__N_131replication_pad_backward_kernelIdEEvN5torch10headeronly6detail27GenericPackedTensorAccessorINS5_14TensorAccessorIN3c108ArrayRefIlEET_Lm2ENS4_16DefaultPtrTraitsElEENS_6detail16IndexBoundsCheckILm3ElEESB_Lm3ESC_lEENS6_INS7_ISA_KSB_Lm2ESC_lEESG_SI_Lm3ESC_lEEiii ; -- Begin function _ZN2at6native12_GLOBAL__N_131replication_pad_backward_kernelIdEEvN5torch10headeronly6detail27GenericPackedTensorAccessorINS5_14TensorAccessorIN3c108ArrayRefIlEET_Lm2ENS4_16DefaultPtrTraitsElEENS_6detail16IndexBoundsCheckILm3ElEESB_Lm3ESC_lEENS6_INS7_ISA_KSB_Lm2ESC_lEESG_SI_Lm3ESC_lEEiii
	.p2align	8
	.type	_ZN2at6native12_GLOBAL__N_131replication_pad_backward_kernelIdEEvN5torch10headeronly6detail27GenericPackedTensorAccessorINS5_14TensorAccessorIN3c108ArrayRefIlEET_Lm2ENS4_16DefaultPtrTraitsElEENS_6detail16IndexBoundsCheckILm3ElEESB_Lm3ESC_lEENS6_INS7_ISA_KSB_Lm2ESC_lEESG_SI_Lm3ESC_lEEiii,@function
_ZN2at6native12_GLOBAL__N_131replication_pad_backward_kernelIdEEvN5torch10headeronly6detail27GenericPackedTensorAccessorINS5_14TensorAccessorIN3c108ArrayRefIlEET_Lm2ENS4_16DefaultPtrTraitsElEENS_6detail16IndexBoundsCheckILm3ElEESB_Lm3ESC_lEENS6_INS7_ISA_KSB_Lm2ESC_lEESG_SI_Lm3ESC_lEEiii: ; @_ZN2at6native12_GLOBAL__N_131replication_pad_backward_kernelIdEEvN5torch10headeronly6detail27GenericPackedTensorAccessorINS5_14TensorAccessorIN3c108ArrayRefIlEET_Lm2ENS4_16DefaultPtrTraitsElEENS_6detail16IndexBoundsCheckILm3ElEESB_Lm3ESC_lEENS6_INS7_ISA_KSB_Lm2ESC_lEESG_SI_Lm3ESC_lEEiii
; %bb.0:
	s_clause 0x1
	s_load_b32 s2, s[0:1], 0x8c
	s_load_b64 s[4:5], s[0:1], 0x50
	s_bfe_u32 s3, ttmp6, 0x4000c
	v_mov_b32_e32 v2, 0
	s_add_co_i32 s7, s3, 1
	s_and_b32 s6, ttmp6, 15
	s_mul_i32 s7, ttmp9, s7
	s_getreg_b32 s3, hwreg(HW_REG_IB_STS2, 6, 4)
	v_mov_b32_e32 v1, v2
	s_add_co_i32 s6, s6, s7
	s_wait_kmcnt 0x0
	s_and_b32 s2, s2, 0xffff
	s_cmp_eq_u32 s3, 0
	s_cselect_b32 s6, ttmp9, s6
	s_delay_alu instid0(SALU_CYCLE_1) | instskip(SKIP_1) | instid1(VALU_DEP_1)
	v_mad_nc_u64_u32 v[0:1], s2, s6, v[0:1]
	s_mov_b32 s2, exec_lo
	v_cmpx_gt_i64_e64 s[4:5], v[0:1]
	s_cbranch_execz .LBB23_6
; %bb.1:
	v_or_b32_e32 v3, s5, v1
	s_delay_alu instid0(VALU_DEP_1) | instskip(SKIP_1) | instid1(SALU_CYCLE_1)
	v_cmp_ne_u64_e32 vcc_lo, 0, v[2:3]
                                        ; implicit-def: $vgpr2_vgpr3
	s_and_saveexec_b32 s2, vcc_lo
	s_xor_b32 s6, exec_lo, s2
	s_cbranch_execz .LBB23_3
; %bb.2:
	s_cvt_f32_u32 s2, s4
	s_cvt_f32_u32 s7, s5
	s_sub_nc_u64 s[10:11], 0, s[4:5]
	s_mov_b32 s15, 0
	v_dual_mov_b32 v3, 0 :: v_dual_mov_b32 v2, v0
	s_fmamk_f32 s2, s7, 0x4f800000, s2
	s_delay_alu instid0(SALU_CYCLE_3) | instskip(NEXT) | instid1(TRANS32_DEP_1)
	v_s_rcp_f32 s2, s2
	s_mul_f32 s2, s2, 0x5f7ffffc
	s_delay_alu instid0(SALU_CYCLE_3) | instskip(NEXT) | instid1(SALU_CYCLE_3)
	s_mul_f32 s7, s2, 0x2f800000
	s_trunc_f32 s7, s7
	s_delay_alu instid0(SALU_CYCLE_3) | instskip(SKIP_1) | instid1(SALU_CYCLE_2)
	s_fmamk_f32 s2, s7, 0xcf800000, s2
	s_cvt_u32_f32 s9, s7
	s_cvt_u32_f32 s8, s2
	s_delay_alu instid0(SALU_CYCLE_3) | instskip(NEXT) | instid1(SALU_CYCLE_1)
	s_mul_u64 s[12:13], s[10:11], s[8:9]
	s_mul_hi_u32 s17, s8, s13
	s_mul_i32 s16, s8, s13
	s_mul_hi_u32 s14, s8, s12
	s_mul_i32 s7, s9, s12
	s_add_nc_u64 s[16:17], s[14:15], s[16:17]
	s_mul_hi_u32 s2, s9, s12
	s_mul_hi_u32 s18, s9, s13
	s_add_co_u32 s7, s16, s7
	s_add_co_ci_u32 s14, s17, s2
	s_mul_i32 s12, s9, s13
	s_add_co_ci_u32 s13, s18, 0
	s_delay_alu instid0(SALU_CYCLE_1) | instskip(NEXT) | instid1(SALU_CYCLE_1)
	s_add_nc_u64 s[12:13], s[14:15], s[12:13]
	s_add_co_u32 s8, s8, s12
	s_cselect_b32 s2, -1, 0
	s_delay_alu instid0(SALU_CYCLE_1) | instskip(SKIP_1) | instid1(SALU_CYCLE_1)
	s_cmp_lg_u32 s2, 0
	s_add_co_ci_u32 s9, s9, s13
	s_mul_u64 s[10:11], s[10:11], s[8:9]
	s_delay_alu instid0(SALU_CYCLE_1)
	s_mul_hi_u32 s13, s8, s11
	s_mul_i32 s12, s8, s11
	s_mul_hi_u32 s14, s8, s10
	s_mul_i32 s7, s9, s10
	s_add_nc_u64 s[12:13], s[14:15], s[12:13]
	s_mul_hi_u32 s2, s9, s10
	s_mul_hi_u32 s16, s9, s11
	s_add_co_u32 s7, s12, s7
	s_add_co_ci_u32 s14, s13, s2
	s_mul_i32 s10, s9, s11
	s_add_co_ci_u32 s11, s16, 0
	s_delay_alu instid0(SALU_CYCLE_1) | instskip(NEXT) | instid1(SALU_CYCLE_1)
	s_add_nc_u64 s[10:11], s[14:15], s[10:11]
	s_add_co_u32 s2, s8, s10
	s_cselect_b32 s7, -1, 0
	s_delay_alu instid0(SALU_CYCLE_1)
	s_cmp_lg_u32 s7, 0
	s_add_co_ci_u32 s14, s9, s11
	s_mov_b64 s[8:9], 0xffffffff
	v_mul_u64_e32 v[4:5], s[14:15], v[2:3]
	v_mul_hi_u32 v2, v0, s2
	s_and_b64 s[8:9], s[2:3], s[8:9]
	s_delay_alu instid0(VALU_DEP_1) | instskip(SKIP_1) | instid1(VALU_DEP_1)
	v_add_nc_u64_e32 v[4:5], v[2:3], v[4:5]
	v_mov_b32_e32 v2, v1
	v_mul_u64_e32 v[6:7], s[8:9], v[2:3]
	v_mul_u64_e32 v[8:9], s[14:15], v[2:3]
	s_delay_alu instid0(VALU_DEP_2) | instskip(NEXT) | instid1(VALU_DEP_3)
	v_add_co_u32 v2, vcc_lo, v4, v6
	v_add_co_ci_u32_e32 v2, vcc_lo, v5, v7, vcc_lo
	s_delay_alu instid0(VALU_DEP_3) | instskip(NEXT) | instid1(VALU_DEP_1)
	v_add_co_ci_u32_e32 v9, vcc_lo, 0, v9, vcc_lo
	v_add_nc_u64_e32 v[2:3], v[2:3], v[8:9]
	s_delay_alu instid0(VALU_DEP_1) | instskip(NEXT) | instid1(VALU_DEP_1)
	v_mul_u64_e32 v[2:3], s[4:5], v[2:3]
	v_sub_nc_u32_e32 v4, v1, v3
	s_delay_alu instid0(VALU_DEP_2) | instskip(NEXT) | instid1(VALU_DEP_1)
	v_sub_co_u32 v0, vcc_lo, v0, v2
	v_sub_co_ci_u32_e64 v1, null, v1, v3, vcc_lo
	s_delay_alu instid0(VALU_DEP_3) | instskip(NEXT) | instid1(VALU_DEP_3)
	v_subrev_co_ci_u32_e64 v2, null, s5, v4, vcc_lo
	v_sub_co_u32 v3, vcc_lo, v0, s4
	v_cmp_le_u32_e64 s2, s4, v0
	s_delay_alu instid0(VALU_DEP_3) | instskip(SKIP_1) | instid1(VALU_DEP_3)
	v_subrev_co_ci_u32_e64 v4, null, 0, v2, vcc_lo
	v_subrev_co_ci_u32_e64 v2, null, s5, v2, vcc_lo
	v_cndmask_b32_e64 v5, 0, -1, s2
	v_cmp_le_u32_e64 s2, s4, v3
	v_cmp_le_u32_e32 vcc_lo, s5, v1
	s_delay_alu instid0(VALU_DEP_2) | instskip(SKIP_3) | instid1(VALU_DEP_3)
	v_cndmask_b32_e64 v6, 0, -1, s2
	v_cmp_le_u32_e64 s2, s5, v4
	v_cndmask_b32_e64 v8, 0, -1, vcc_lo
	v_cmp_eq_u32_e32 vcc_lo, s5, v4
	v_cndmask_b32_e64 v7, 0, -1, s2
	v_cmp_eq_u32_e64 s2, s5, v1
	s_delay_alu instid0(VALU_DEP_1) | instskip(SKIP_1) | instid1(VALU_DEP_1)
	v_dual_cndmask_b32 v6, v7, v6, vcc_lo :: v_dual_cndmask_b32 v5, v8, v5, s2
	v_sub_co_u32 v7, vcc_lo, v3, s4
	v_subrev_co_ci_u32_e64 v2, null, 0, v2, vcc_lo
	s_delay_alu instid0(VALU_DEP_3) | instskip(NEXT) | instid1(VALU_DEP_2)
	v_cmp_ne_u32_e32 vcc_lo, 0, v6
	v_dual_cndmask_b32 v2, v4, v2, vcc_lo :: v_dual_cndmask_b32 v4, v3, v7, vcc_lo
	v_cmp_ne_u32_e32 vcc_lo, 0, v5
	s_delay_alu instid0(VALU_DEP_2)
	v_dual_cndmask_b32 v3, v1, v2 :: v_dual_cndmask_b32 v2, v0, v4
                                        ; implicit-def: $vgpr0_vgpr1
.LBB23_3:
	s_and_not1_saveexec_b32 s2, s6
	s_cbranch_execz .LBB23_5
; %bb.4:
	v_cvt_f32_u32_e32 v1, s4
	s_sub_co_i32 s5, 0, s4
	v_mov_b32_e32 v3, 0
	s_delay_alu instid0(VALU_DEP_2) | instskip(SKIP_1) | instid1(TRANS32_DEP_1)
	v_rcp_iflag_f32_e32 v1, v1
	v_nop
	v_mul_f32_e32 v1, 0x4f7ffffe, v1
	s_delay_alu instid0(VALU_DEP_1) | instskip(NEXT) | instid1(VALU_DEP_1)
	v_cvt_u32_f32_e32 v1, v1
	v_mul_lo_u32 v2, s5, v1
	s_delay_alu instid0(VALU_DEP_1) | instskip(NEXT) | instid1(VALU_DEP_1)
	v_mul_hi_u32 v2, v1, v2
	v_add_nc_u32_e32 v1, v1, v2
	s_delay_alu instid0(VALU_DEP_1) | instskip(NEXT) | instid1(VALU_DEP_1)
	v_mul_hi_u32 v1, v0, v1
	v_mul_lo_u32 v1, v1, s4
	s_delay_alu instid0(VALU_DEP_1) | instskip(NEXT) | instid1(VALU_DEP_1)
	v_sub_nc_u32_e32 v0, v0, v1
	v_subrev_nc_u32_e32 v1, s4, v0
	v_cmp_le_u32_e32 vcc_lo, s4, v0
	s_delay_alu instid0(VALU_DEP_2) | instskip(NEXT) | instid1(VALU_DEP_1)
	v_cndmask_b32_e32 v0, v0, v1, vcc_lo
	v_subrev_nc_u32_e32 v1, s4, v0
	v_cmp_le_u32_e32 vcc_lo, s4, v0
	s_delay_alu instid0(VALU_DEP_2)
	v_cndmask_b32_e32 v2, v0, v1, vcc_lo
.LBB23_5:
	s_or_b32 exec_lo, exec_lo, s2
	s_clause 0x1
	s_load_b64 s[4:5], s[0:1], 0x68
	s_load_b64 s[8:9], s[0:1], 0x38
	s_bfe_u32 s2, ttmp6, 0x40014
	s_bfe_u32 s11, ttmp6, 0x40010
	s_lshr_b32 s10, ttmp7, 16
	s_add_co_i32 s2, s2, 1
	s_and_b32 s15, ttmp7, 0xffff
	s_add_co_i32 s11, s11, 1
	s_mul_i32 s2, s10, s2
	s_bfe_u32 s16, ttmp6, 0x40008
	s_mul_i32 s11, s15, s11
	s_bfe_u32 s17, ttmp6, 0x40004
	s_add_co_i32 s16, s16, s2
	s_add_co_i32 s17, s17, s11
	s_cmp_eq_u32 s3, 0
	s_mov_b32 s3, 0
	s_cselect_b32 s2, s10, s16
	s_cselect_b32 s10, s15, s17
	s_mov_b32 s15, s3
	s_wait_kmcnt 0x0
	v_mul_u64_e32 v[0:1], s[4:5], v[2:3]
	s_clause 0x1
	s_load_b96 s[12:14], s[0:1], 0x70
	s_load_b128 s[4:7], s[0:1], 0x58
	s_wait_kmcnt 0x0
	s_add_co_i32 s2, s14, s2
	s_add_co_i32 s14, s13, s10
	s_mul_u64 s[4:5], s[4:5], s[2:3]
	s_mul_u64 s[6:7], s[6:7], s[14:15]
	s_lshl_b64 s[4:5], s[4:5], 3
	s_lshl_b64 s[6:7], s[6:7], 3
	s_add_nc_u64 s[4:5], s[8:9], s[4:5]
	s_delay_alu instid0(SALU_CYCLE_1)
	s_add_nc_u64 s[4:5], s[4:5], s[6:7]
	s_delay_alu instid0(VALU_DEP_1) | instid1(SALU_CYCLE_1)
	v_lshl_add_u64 v[0:1], v[0:1], 3, s[4:5]
	s_load_b256 s[4:11], s[0:1], 0x18
	s_wait_kmcnt 0x0
	s_sub_co_i32 s5, 0, s12
	s_load_b64 s[0:1], s[0:1], 0x0
	s_max_i32 s5, s5, 0
	global_load_b64 v[0:1], v[0:1], off
	s_add_co_i32 s4, s12, s4
	s_mul_u64 s[2:3], s[6:7], s[2:3]
	s_add_co_i32 s4, s4, -1
	s_lshl_b64 s[2:3], s[2:3], 3
	v_maxmin_i32 v2, s12, v2, s4
	s_max_i32 s4, s12, 0
	s_wait_kmcnt 0x0
	s_add_nc_u64 s[0:1], s[0:1], s[2:3]
	s_sub_co_i32 s4, s5, s4
	s_delay_alu instid0(SALU_CYCLE_1) | instskip(SKIP_1) | instid1(SALU_CYCLE_1)
	v_add_nc_u32_e32 v2, s4, v2
	s_mul_u64 s[4:5], s[8:9], s[14:15]
	s_lshl_b64 s[2:3], s[4:5], 3
	s_delay_alu instid0(VALU_DEP_1) | instskip(SKIP_1) | instid1(VALU_DEP_1)
	v_ashrrev_i32_e32 v3, 31, v2
	s_add_nc_u64 s[0:1], s[0:1], s[2:3]
	v_mul_u64_e32 v[2:3], s[10:11], v[2:3]
	s_delay_alu instid0(VALU_DEP_1)
	v_lshl_add_u64 v[2:3], v[2:3], 3, s[0:1]
	s_wait_xcnt 0x0
	s_wait_loadcnt 0x0
	global_atomic_add_f64 v[2:3], v[0:1], off scope:SCOPE_DEV
.LBB23_6:
	s_endpgm
	.section	.rodata,"a",@progbits
	.p2align	6, 0x0
	.amdhsa_kernel _ZN2at6native12_GLOBAL__N_131replication_pad_backward_kernelIdEEvN5torch10headeronly6detail27GenericPackedTensorAccessorINS5_14TensorAccessorIN3c108ArrayRefIlEET_Lm2ENS4_16DefaultPtrTraitsElEENS_6detail16IndexBoundsCheckILm3ElEESB_Lm3ESC_lEENS6_INS7_ISA_KSB_Lm2ESC_lEESG_SI_Lm3ESC_lEEiii
		.amdhsa_group_segment_fixed_size 0
		.amdhsa_private_segment_fixed_size 0
		.amdhsa_kernarg_size 384
		.amdhsa_user_sgpr_count 2
		.amdhsa_user_sgpr_dispatch_ptr 0
		.amdhsa_user_sgpr_queue_ptr 0
		.amdhsa_user_sgpr_kernarg_segment_ptr 1
		.amdhsa_user_sgpr_dispatch_id 0
		.amdhsa_user_sgpr_kernarg_preload_length 0
		.amdhsa_user_sgpr_kernarg_preload_offset 0
		.amdhsa_user_sgpr_private_segment_size 0
		.amdhsa_wavefront_size32 1
		.amdhsa_uses_dynamic_stack 0
		.amdhsa_enable_private_segment 0
		.amdhsa_system_sgpr_workgroup_id_x 1
		.amdhsa_system_sgpr_workgroup_id_y 1
		.amdhsa_system_sgpr_workgroup_id_z 1
		.amdhsa_system_sgpr_workgroup_info 0
		.amdhsa_system_vgpr_workitem_id 0
		.amdhsa_next_free_vgpr 10
		.amdhsa_next_free_sgpr 19
		.amdhsa_named_barrier_count 0
		.amdhsa_reserve_vcc 1
		.amdhsa_float_round_mode_32 0
		.amdhsa_float_round_mode_16_64 0
		.amdhsa_float_denorm_mode_32 3
		.amdhsa_float_denorm_mode_16_64 3
		.amdhsa_fp16_overflow 0
		.amdhsa_memory_ordered 1
		.amdhsa_forward_progress 1
		.amdhsa_inst_pref_size 9
		.amdhsa_round_robin_scheduling 0
		.amdhsa_exception_fp_ieee_invalid_op 0
		.amdhsa_exception_fp_denorm_src 0
		.amdhsa_exception_fp_ieee_div_zero 0
		.amdhsa_exception_fp_ieee_overflow 0
		.amdhsa_exception_fp_ieee_underflow 0
		.amdhsa_exception_fp_ieee_inexact 0
		.amdhsa_exception_int_div_zero 0
	.end_amdhsa_kernel
	.section	.text._ZN2at6native12_GLOBAL__N_131replication_pad_backward_kernelIdEEvN5torch10headeronly6detail27GenericPackedTensorAccessorINS5_14TensorAccessorIN3c108ArrayRefIlEET_Lm2ENS4_16DefaultPtrTraitsElEENS_6detail16IndexBoundsCheckILm3ElEESB_Lm3ESC_lEENS6_INS7_ISA_KSB_Lm2ESC_lEESG_SI_Lm3ESC_lEEiii,"axG",@progbits,_ZN2at6native12_GLOBAL__N_131replication_pad_backward_kernelIdEEvN5torch10headeronly6detail27GenericPackedTensorAccessorINS5_14TensorAccessorIN3c108ArrayRefIlEET_Lm2ENS4_16DefaultPtrTraitsElEENS_6detail16IndexBoundsCheckILm3ElEESB_Lm3ESC_lEENS6_INS7_ISA_KSB_Lm2ESC_lEESG_SI_Lm3ESC_lEEiii,comdat
.Lfunc_end23:
	.size	_ZN2at6native12_GLOBAL__N_131replication_pad_backward_kernelIdEEvN5torch10headeronly6detail27GenericPackedTensorAccessorINS5_14TensorAccessorIN3c108ArrayRefIlEET_Lm2ENS4_16DefaultPtrTraitsElEENS_6detail16IndexBoundsCheckILm3ElEESB_Lm3ESC_lEENS6_INS7_ISA_KSB_Lm2ESC_lEESG_SI_Lm3ESC_lEEiii, .Lfunc_end23-_ZN2at6native12_GLOBAL__N_131replication_pad_backward_kernelIdEEvN5torch10headeronly6detail27GenericPackedTensorAccessorINS5_14TensorAccessorIN3c108ArrayRefIlEET_Lm2ENS4_16DefaultPtrTraitsElEENS_6detail16IndexBoundsCheckILm3ElEESB_Lm3ESC_lEENS6_INS7_ISA_KSB_Lm2ESC_lEESG_SI_Lm3ESC_lEEiii
                                        ; -- End function
	.set _ZN2at6native12_GLOBAL__N_131replication_pad_backward_kernelIdEEvN5torch10headeronly6detail27GenericPackedTensorAccessorINS5_14TensorAccessorIN3c108ArrayRefIlEET_Lm2ENS4_16DefaultPtrTraitsElEENS_6detail16IndexBoundsCheckILm3ElEESB_Lm3ESC_lEENS6_INS7_ISA_KSB_Lm2ESC_lEESG_SI_Lm3ESC_lEEiii.num_vgpr, 10
	.set _ZN2at6native12_GLOBAL__N_131replication_pad_backward_kernelIdEEvN5torch10headeronly6detail27GenericPackedTensorAccessorINS5_14TensorAccessorIN3c108ArrayRefIlEET_Lm2ENS4_16DefaultPtrTraitsElEENS_6detail16IndexBoundsCheckILm3ElEESB_Lm3ESC_lEENS6_INS7_ISA_KSB_Lm2ESC_lEESG_SI_Lm3ESC_lEEiii.num_agpr, 0
	.set _ZN2at6native12_GLOBAL__N_131replication_pad_backward_kernelIdEEvN5torch10headeronly6detail27GenericPackedTensorAccessorINS5_14TensorAccessorIN3c108ArrayRefIlEET_Lm2ENS4_16DefaultPtrTraitsElEENS_6detail16IndexBoundsCheckILm3ElEESB_Lm3ESC_lEENS6_INS7_ISA_KSB_Lm2ESC_lEESG_SI_Lm3ESC_lEEiii.numbered_sgpr, 19
	.set _ZN2at6native12_GLOBAL__N_131replication_pad_backward_kernelIdEEvN5torch10headeronly6detail27GenericPackedTensorAccessorINS5_14TensorAccessorIN3c108ArrayRefIlEET_Lm2ENS4_16DefaultPtrTraitsElEENS_6detail16IndexBoundsCheckILm3ElEESB_Lm3ESC_lEENS6_INS7_ISA_KSB_Lm2ESC_lEESG_SI_Lm3ESC_lEEiii.num_named_barrier, 0
	.set _ZN2at6native12_GLOBAL__N_131replication_pad_backward_kernelIdEEvN5torch10headeronly6detail27GenericPackedTensorAccessorINS5_14TensorAccessorIN3c108ArrayRefIlEET_Lm2ENS4_16DefaultPtrTraitsElEENS_6detail16IndexBoundsCheckILm3ElEESB_Lm3ESC_lEENS6_INS7_ISA_KSB_Lm2ESC_lEESG_SI_Lm3ESC_lEEiii.private_seg_size, 0
	.set _ZN2at6native12_GLOBAL__N_131replication_pad_backward_kernelIdEEvN5torch10headeronly6detail27GenericPackedTensorAccessorINS5_14TensorAccessorIN3c108ArrayRefIlEET_Lm2ENS4_16DefaultPtrTraitsElEENS_6detail16IndexBoundsCheckILm3ElEESB_Lm3ESC_lEENS6_INS7_ISA_KSB_Lm2ESC_lEESG_SI_Lm3ESC_lEEiii.uses_vcc, 1
	.set _ZN2at6native12_GLOBAL__N_131replication_pad_backward_kernelIdEEvN5torch10headeronly6detail27GenericPackedTensorAccessorINS5_14TensorAccessorIN3c108ArrayRefIlEET_Lm2ENS4_16DefaultPtrTraitsElEENS_6detail16IndexBoundsCheckILm3ElEESB_Lm3ESC_lEENS6_INS7_ISA_KSB_Lm2ESC_lEESG_SI_Lm3ESC_lEEiii.uses_flat_scratch, 0
	.set _ZN2at6native12_GLOBAL__N_131replication_pad_backward_kernelIdEEvN5torch10headeronly6detail27GenericPackedTensorAccessorINS5_14TensorAccessorIN3c108ArrayRefIlEET_Lm2ENS4_16DefaultPtrTraitsElEENS_6detail16IndexBoundsCheckILm3ElEESB_Lm3ESC_lEENS6_INS7_ISA_KSB_Lm2ESC_lEESG_SI_Lm3ESC_lEEiii.has_dyn_sized_stack, 0
	.set _ZN2at6native12_GLOBAL__N_131replication_pad_backward_kernelIdEEvN5torch10headeronly6detail27GenericPackedTensorAccessorINS5_14TensorAccessorIN3c108ArrayRefIlEET_Lm2ENS4_16DefaultPtrTraitsElEENS_6detail16IndexBoundsCheckILm3ElEESB_Lm3ESC_lEENS6_INS7_ISA_KSB_Lm2ESC_lEESG_SI_Lm3ESC_lEEiii.has_recursion, 0
	.set _ZN2at6native12_GLOBAL__N_131replication_pad_backward_kernelIdEEvN5torch10headeronly6detail27GenericPackedTensorAccessorINS5_14TensorAccessorIN3c108ArrayRefIlEET_Lm2ENS4_16DefaultPtrTraitsElEENS_6detail16IndexBoundsCheckILm3ElEESB_Lm3ESC_lEENS6_INS7_ISA_KSB_Lm2ESC_lEESG_SI_Lm3ESC_lEEiii.has_indirect_call, 0
	.section	.AMDGPU.csdata,"",@progbits
; Kernel info:
; codeLenInByte = 1136
; TotalNumSgprs: 21
; NumVgprs: 10
; ScratchSize: 0
; MemoryBound: 0
; FloatMode: 240
; IeeeMode: 1
; LDSByteSize: 0 bytes/workgroup (compile time only)
; SGPRBlocks: 0
; VGPRBlocks: 0
; NumSGPRsForWavesPerEU: 21
; NumVGPRsForWavesPerEU: 10
; NamedBarCnt: 0
; Occupancy: 16
; WaveLimiterHint : 1
; COMPUTE_PGM_RSRC2:SCRATCH_EN: 0
; COMPUTE_PGM_RSRC2:USER_SGPR: 2
; COMPUTE_PGM_RSRC2:TRAP_HANDLER: 0
; COMPUTE_PGM_RSRC2:TGID_X_EN: 1
; COMPUTE_PGM_RSRC2:TGID_Y_EN: 1
; COMPUTE_PGM_RSRC2:TGID_Z_EN: 1
; COMPUTE_PGM_RSRC2:TIDIG_COMP_CNT: 0
	.section	.text._ZN2at6native12_GLOBAL__N_131replication_pad_backward_kernelIfEEvN5torch10headeronly6detail27GenericPackedTensorAccessorINS5_14TensorAccessorIN3c108ArrayRefIlEET_Lm2ENS4_16DefaultPtrTraitsElEENS_6detail16IndexBoundsCheckILm3ElEESB_Lm3ESC_lEENS6_INS7_ISA_KSB_Lm2ESC_lEESG_SI_Lm3ESC_lEEiii,"axG",@progbits,_ZN2at6native12_GLOBAL__N_131replication_pad_backward_kernelIfEEvN5torch10headeronly6detail27GenericPackedTensorAccessorINS5_14TensorAccessorIN3c108ArrayRefIlEET_Lm2ENS4_16DefaultPtrTraitsElEENS_6detail16IndexBoundsCheckILm3ElEESB_Lm3ESC_lEENS6_INS7_ISA_KSB_Lm2ESC_lEESG_SI_Lm3ESC_lEEiii,comdat
	.globl	_ZN2at6native12_GLOBAL__N_131replication_pad_backward_kernelIfEEvN5torch10headeronly6detail27GenericPackedTensorAccessorINS5_14TensorAccessorIN3c108ArrayRefIlEET_Lm2ENS4_16DefaultPtrTraitsElEENS_6detail16IndexBoundsCheckILm3ElEESB_Lm3ESC_lEENS6_INS7_ISA_KSB_Lm2ESC_lEESG_SI_Lm3ESC_lEEiii ; -- Begin function _ZN2at6native12_GLOBAL__N_131replication_pad_backward_kernelIfEEvN5torch10headeronly6detail27GenericPackedTensorAccessorINS5_14TensorAccessorIN3c108ArrayRefIlEET_Lm2ENS4_16DefaultPtrTraitsElEENS_6detail16IndexBoundsCheckILm3ElEESB_Lm3ESC_lEENS6_INS7_ISA_KSB_Lm2ESC_lEESG_SI_Lm3ESC_lEEiii
	.p2align	8
	.type	_ZN2at6native12_GLOBAL__N_131replication_pad_backward_kernelIfEEvN5torch10headeronly6detail27GenericPackedTensorAccessorINS5_14TensorAccessorIN3c108ArrayRefIlEET_Lm2ENS4_16DefaultPtrTraitsElEENS_6detail16IndexBoundsCheckILm3ElEESB_Lm3ESC_lEENS6_INS7_ISA_KSB_Lm2ESC_lEESG_SI_Lm3ESC_lEEiii,@function
_ZN2at6native12_GLOBAL__N_131replication_pad_backward_kernelIfEEvN5torch10headeronly6detail27GenericPackedTensorAccessorINS5_14TensorAccessorIN3c108ArrayRefIlEET_Lm2ENS4_16DefaultPtrTraitsElEENS_6detail16IndexBoundsCheckILm3ElEESB_Lm3ESC_lEENS6_INS7_ISA_KSB_Lm2ESC_lEESG_SI_Lm3ESC_lEEiii: ; @_ZN2at6native12_GLOBAL__N_131replication_pad_backward_kernelIfEEvN5torch10headeronly6detail27GenericPackedTensorAccessorINS5_14TensorAccessorIN3c108ArrayRefIlEET_Lm2ENS4_16DefaultPtrTraitsElEENS_6detail16IndexBoundsCheckILm3ElEESB_Lm3ESC_lEENS6_INS7_ISA_KSB_Lm2ESC_lEESG_SI_Lm3ESC_lEEiii
; %bb.0:
	s_clause 0x1
	s_load_b32 s2, s[0:1], 0x8c
	s_load_b64 s[4:5], s[0:1], 0x50
	s_bfe_u32 s3, ttmp6, 0x4000c
	v_mov_b32_e32 v2, 0
	s_add_co_i32 s7, s3, 1
	s_and_b32 s6, ttmp6, 15
	s_mul_i32 s7, ttmp9, s7
	s_getreg_b32 s3, hwreg(HW_REG_IB_STS2, 6, 4)
	v_mov_b32_e32 v1, v2
	s_add_co_i32 s6, s6, s7
	s_wait_kmcnt 0x0
	s_and_b32 s2, s2, 0xffff
	s_cmp_eq_u32 s3, 0
	s_cselect_b32 s6, ttmp9, s6
	s_delay_alu instid0(SALU_CYCLE_1) | instskip(SKIP_1) | instid1(VALU_DEP_1)
	v_mad_nc_u64_u32 v[0:1], s2, s6, v[0:1]
	s_mov_b32 s2, exec_lo
	v_cmpx_gt_i64_e64 s[4:5], v[0:1]
	s_cbranch_execz .LBB24_6
; %bb.1:
	v_or_b32_e32 v3, s5, v1
	s_delay_alu instid0(VALU_DEP_1) | instskip(SKIP_1) | instid1(SALU_CYCLE_1)
	v_cmp_ne_u64_e32 vcc_lo, 0, v[2:3]
                                        ; implicit-def: $vgpr2_vgpr3
	s_and_saveexec_b32 s2, vcc_lo
	s_xor_b32 s6, exec_lo, s2
	s_cbranch_execz .LBB24_3
; %bb.2:
	s_cvt_f32_u32 s2, s4
	s_cvt_f32_u32 s7, s5
	s_sub_nc_u64 s[10:11], 0, s[4:5]
	s_mov_b32 s15, 0
	v_dual_mov_b32 v3, 0 :: v_dual_mov_b32 v2, v0
	s_fmamk_f32 s2, s7, 0x4f800000, s2
	s_delay_alu instid0(SALU_CYCLE_3) | instskip(NEXT) | instid1(TRANS32_DEP_1)
	v_s_rcp_f32 s2, s2
	s_mul_f32 s2, s2, 0x5f7ffffc
	s_delay_alu instid0(SALU_CYCLE_3) | instskip(NEXT) | instid1(SALU_CYCLE_3)
	s_mul_f32 s7, s2, 0x2f800000
	s_trunc_f32 s7, s7
	s_delay_alu instid0(SALU_CYCLE_3) | instskip(SKIP_1) | instid1(SALU_CYCLE_2)
	s_fmamk_f32 s2, s7, 0xcf800000, s2
	s_cvt_u32_f32 s9, s7
	s_cvt_u32_f32 s8, s2
	s_delay_alu instid0(SALU_CYCLE_3) | instskip(NEXT) | instid1(SALU_CYCLE_1)
	s_mul_u64 s[12:13], s[10:11], s[8:9]
	s_mul_hi_u32 s17, s8, s13
	s_mul_i32 s16, s8, s13
	s_mul_hi_u32 s14, s8, s12
	s_mul_i32 s7, s9, s12
	s_add_nc_u64 s[16:17], s[14:15], s[16:17]
	s_mul_hi_u32 s2, s9, s12
	s_mul_hi_u32 s18, s9, s13
	s_add_co_u32 s7, s16, s7
	s_add_co_ci_u32 s14, s17, s2
	s_mul_i32 s12, s9, s13
	s_add_co_ci_u32 s13, s18, 0
	s_delay_alu instid0(SALU_CYCLE_1) | instskip(NEXT) | instid1(SALU_CYCLE_1)
	s_add_nc_u64 s[12:13], s[14:15], s[12:13]
	s_add_co_u32 s8, s8, s12
	s_cselect_b32 s2, -1, 0
	s_delay_alu instid0(SALU_CYCLE_1) | instskip(SKIP_1) | instid1(SALU_CYCLE_1)
	s_cmp_lg_u32 s2, 0
	s_add_co_ci_u32 s9, s9, s13
	s_mul_u64 s[10:11], s[10:11], s[8:9]
	s_delay_alu instid0(SALU_CYCLE_1)
	s_mul_hi_u32 s13, s8, s11
	s_mul_i32 s12, s8, s11
	s_mul_hi_u32 s14, s8, s10
	s_mul_i32 s7, s9, s10
	s_add_nc_u64 s[12:13], s[14:15], s[12:13]
	s_mul_hi_u32 s2, s9, s10
	s_mul_hi_u32 s16, s9, s11
	s_add_co_u32 s7, s12, s7
	s_add_co_ci_u32 s14, s13, s2
	s_mul_i32 s10, s9, s11
	s_add_co_ci_u32 s11, s16, 0
	s_delay_alu instid0(SALU_CYCLE_1) | instskip(NEXT) | instid1(SALU_CYCLE_1)
	s_add_nc_u64 s[10:11], s[14:15], s[10:11]
	s_add_co_u32 s2, s8, s10
	s_cselect_b32 s7, -1, 0
	s_delay_alu instid0(SALU_CYCLE_1)
	s_cmp_lg_u32 s7, 0
	s_add_co_ci_u32 s14, s9, s11
	s_mov_b64 s[8:9], 0xffffffff
	v_mul_u64_e32 v[4:5], s[14:15], v[2:3]
	v_mul_hi_u32 v2, v0, s2
	s_and_b64 s[8:9], s[2:3], s[8:9]
	s_delay_alu instid0(VALU_DEP_1) | instskip(SKIP_1) | instid1(VALU_DEP_1)
	v_add_nc_u64_e32 v[4:5], v[2:3], v[4:5]
	v_mov_b32_e32 v2, v1
	v_mul_u64_e32 v[6:7], s[8:9], v[2:3]
	v_mul_u64_e32 v[8:9], s[14:15], v[2:3]
	s_delay_alu instid0(VALU_DEP_2) | instskip(NEXT) | instid1(VALU_DEP_3)
	v_add_co_u32 v2, vcc_lo, v4, v6
	v_add_co_ci_u32_e32 v2, vcc_lo, v5, v7, vcc_lo
	s_delay_alu instid0(VALU_DEP_3) | instskip(NEXT) | instid1(VALU_DEP_1)
	v_add_co_ci_u32_e32 v9, vcc_lo, 0, v9, vcc_lo
	v_add_nc_u64_e32 v[2:3], v[2:3], v[8:9]
	s_delay_alu instid0(VALU_DEP_1) | instskip(NEXT) | instid1(VALU_DEP_1)
	v_mul_u64_e32 v[2:3], s[4:5], v[2:3]
	v_sub_nc_u32_e32 v4, v1, v3
	s_delay_alu instid0(VALU_DEP_2) | instskip(NEXT) | instid1(VALU_DEP_1)
	v_sub_co_u32 v0, vcc_lo, v0, v2
	v_sub_co_ci_u32_e64 v1, null, v1, v3, vcc_lo
	s_delay_alu instid0(VALU_DEP_3) | instskip(NEXT) | instid1(VALU_DEP_3)
	v_subrev_co_ci_u32_e64 v2, null, s5, v4, vcc_lo
	v_sub_co_u32 v3, vcc_lo, v0, s4
	v_cmp_le_u32_e64 s2, s4, v0
	s_delay_alu instid0(VALU_DEP_3) | instskip(SKIP_1) | instid1(VALU_DEP_3)
	v_subrev_co_ci_u32_e64 v4, null, 0, v2, vcc_lo
	v_subrev_co_ci_u32_e64 v2, null, s5, v2, vcc_lo
	v_cndmask_b32_e64 v5, 0, -1, s2
	v_cmp_le_u32_e64 s2, s4, v3
	v_cmp_le_u32_e32 vcc_lo, s5, v1
	s_delay_alu instid0(VALU_DEP_2) | instskip(SKIP_3) | instid1(VALU_DEP_3)
	v_cndmask_b32_e64 v6, 0, -1, s2
	v_cmp_le_u32_e64 s2, s5, v4
	v_cndmask_b32_e64 v8, 0, -1, vcc_lo
	v_cmp_eq_u32_e32 vcc_lo, s5, v4
	v_cndmask_b32_e64 v7, 0, -1, s2
	v_cmp_eq_u32_e64 s2, s5, v1
	s_delay_alu instid0(VALU_DEP_1) | instskip(SKIP_1) | instid1(VALU_DEP_1)
	v_dual_cndmask_b32 v6, v7, v6, vcc_lo :: v_dual_cndmask_b32 v5, v8, v5, s2
	v_sub_co_u32 v7, vcc_lo, v3, s4
	v_subrev_co_ci_u32_e64 v2, null, 0, v2, vcc_lo
	s_delay_alu instid0(VALU_DEP_3) | instskip(NEXT) | instid1(VALU_DEP_2)
	v_cmp_ne_u32_e32 vcc_lo, 0, v6
	v_dual_cndmask_b32 v2, v4, v2, vcc_lo :: v_dual_cndmask_b32 v4, v3, v7, vcc_lo
	v_cmp_ne_u32_e32 vcc_lo, 0, v5
	s_delay_alu instid0(VALU_DEP_2)
	v_dual_cndmask_b32 v3, v1, v2 :: v_dual_cndmask_b32 v2, v0, v4
                                        ; implicit-def: $vgpr0_vgpr1
.LBB24_3:
	s_and_not1_saveexec_b32 s2, s6
	s_cbranch_execz .LBB24_5
; %bb.4:
	v_cvt_f32_u32_e32 v1, s4
	s_sub_co_i32 s5, 0, s4
	v_mov_b32_e32 v3, 0
	s_delay_alu instid0(VALU_DEP_2) | instskip(SKIP_1) | instid1(TRANS32_DEP_1)
	v_rcp_iflag_f32_e32 v1, v1
	v_nop
	v_mul_f32_e32 v1, 0x4f7ffffe, v1
	s_delay_alu instid0(VALU_DEP_1) | instskip(NEXT) | instid1(VALU_DEP_1)
	v_cvt_u32_f32_e32 v1, v1
	v_mul_lo_u32 v2, s5, v1
	s_delay_alu instid0(VALU_DEP_1) | instskip(NEXT) | instid1(VALU_DEP_1)
	v_mul_hi_u32 v2, v1, v2
	v_add_nc_u32_e32 v1, v1, v2
	s_delay_alu instid0(VALU_DEP_1) | instskip(NEXT) | instid1(VALU_DEP_1)
	v_mul_hi_u32 v1, v0, v1
	v_mul_lo_u32 v1, v1, s4
	s_delay_alu instid0(VALU_DEP_1) | instskip(NEXT) | instid1(VALU_DEP_1)
	v_sub_nc_u32_e32 v0, v0, v1
	v_subrev_nc_u32_e32 v1, s4, v0
	v_cmp_le_u32_e32 vcc_lo, s4, v0
	s_delay_alu instid0(VALU_DEP_2) | instskip(NEXT) | instid1(VALU_DEP_1)
	v_cndmask_b32_e32 v0, v0, v1, vcc_lo
	v_subrev_nc_u32_e32 v1, s4, v0
	v_cmp_le_u32_e32 vcc_lo, s4, v0
	s_delay_alu instid0(VALU_DEP_2)
	v_cndmask_b32_e32 v2, v0, v1, vcc_lo
.LBB24_5:
	s_or_b32 exec_lo, exec_lo, s2
	s_clause 0x1
	s_load_b64 s[4:5], s[0:1], 0x68
	s_load_b64 s[8:9], s[0:1], 0x38
	s_bfe_u32 s2, ttmp6, 0x40014
	s_bfe_u32 s11, ttmp6, 0x40010
	s_lshr_b32 s10, ttmp7, 16
	s_add_co_i32 s2, s2, 1
	s_and_b32 s15, ttmp7, 0xffff
	s_add_co_i32 s11, s11, 1
	s_mul_i32 s2, s10, s2
	s_bfe_u32 s16, ttmp6, 0x40008
	s_mul_i32 s11, s15, s11
	s_bfe_u32 s17, ttmp6, 0x40004
	s_add_co_i32 s16, s16, s2
	s_add_co_i32 s17, s17, s11
	s_cmp_eq_u32 s3, 0
	s_mov_b32 s3, 0
	s_cselect_b32 s2, s10, s16
	s_cselect_b32 s10, s15, s17
	s_mov_b32 s15, s3
	s_wait_kmcnt 0x0
	v_mul_u64_e32 v[0:1], s[4:5], v[2:3]
	s_clause 0x1
	s_load_b96 s[12:14], s[0:1], 0x70
	s_load_b128 s[4:7], s[0:1], 0x58
	s_wait_kmcnt 0x0
	s_add_co_i32 s2, s14, s2
	s_add_co_i32 s14, s13, s10
	s_mul_u64 s[4:5], s[4:5], s[2:3]
	s_mul_u64 s[6:7], s[6:7], s[14:15]
	s_lshl_b64 s[4:5], s[4:5], 2
	s_lshl_b64 s[6:7], s[6:7], 2
	s_add_nc_u64 s[4:5], s[8:9], s[4:5]
	s_delay_alu instid0(SALU_CYCLE_1)
	s_add_nc_u64 s[4:5], s[4:5], s[6:7]
	s_delay_alu instid0(VALU_DEP_1) | instid1(SALU_CYCLE_1)
	v_lshl_add_u64 v[0:1], v[0:1], 2, s[4:5]
	s_load_b256 s[4:11], s[0:1], 0x18
	s_wait_kmcnt 0x0
	s_sub_co_i32 s5, 0, s12
	s_load_b64 s[0:1], s[0:1], 0x0
	s_max_i32 s5, s5, 0
	global_load_b32 v3, v[0:1], off
	s_add_co_i32 s4, s12, s4
	s_mul_u64 s[2:3], s[6:7], s[2:3]
	s_add_co_i32 s4, s4, -1
	s_lshl_b64 s[2:3], s[2:3], 2
	s_wait_xcnt 0x0
	v_maxmin_i32 v0, s12, v2, s4
	s_max_i32 s4, s12, 0
	s_wait_kmcnt 0x0
	s_add_nc_u64 s[0:1], s[0:1], s[2:3]
	s_sub_co_i32 s4, s5, s4
	s_delay_alu instid0(SALU_CYCLE_1) | instskip(SKIP_1) | instid1(SALU_CYCLE_1)
	v_add_nc_u32_e32 v0, s4, v0
	s_mul_u64 s[4:5], s[8:9], s[14:15]
	s_lshl_b64 s[2:3], s[4:5], 2
	s_delay_alu instid0(VALU_DEP_1) | instskip(SKIP_1) | instid1(VALU_DEP_1)
	v_ashrrev_i32_e32 v1, 31, v0
	s_add_nc_u64 s[0:1], s[0:1], s[2:3]
	v_mul_u64_e32 v[0:1], s[10:11], v[0:1]
	s_delay_alu instid0(VALU_DEP_1)
	v_lshl_add_u64 v[0:1], v[0:1], 2, s[0:1]
	s_wait_loadcnt 0x0
	global_atomic_add_f32 v[0:1], v3, off scope:SCOPE_DEV
.LBB24_6:
	s_endpgm
	.section	.rodata,"a",@progbits
	.p2align	6, 0x0
	.amdhsa_kernel _ZN2at6native12_GLOBAL__N_131replication_pad_backward_kernelIfEEvN5torch10headeronly6detail27GenericPackedTensorAccessorINS5_14TensorAccessorIN3c108ArrayRefIlEET_Lm2ENS4_16DefaultPtrTraitsElEENS_6detail16IndexBoundsCheckILm3ElEESB_Lm3ESC_lEENS6_INS7_ISA_KSB_Lm2ESC_lEESG_SI_Lm3ESC_lEEiii
		.amdhsa_group_segment_fixed_size 0
		.amdhsa_private_segment_fixed_size 0
		.amdhsa_kernarg_size 384
		.amdhsa_user_sgpr_count 2
		.amdhsa_user_sgpr_dispatch_ptr 0
		.amdhsa_user_sgpr_queue_ptr 0
		.amdhsa_user_sgpr_kernarg_segment_ptr 1
		.amdhsa_user_sgpr_dispatch_id 0
		.amdhsa_user_sgpr_kernarg_preload_length 0
		.amdhsa_user_sgpr_kernarg_preload_offset 0
		.amdhsa_user_sgpr_private_segment_size 0
		.amdhsa_wavefront_size32 1
		.amdhsa_uses_dynamic_stack 0
		.amdhsa_enable_private_segment 0
		.amdhsa_system_sgpr_workgroup_id_x 1
		.amdhsa_system_sgpr_workgroup_id_y 1
		.amdhsa_system_sgpr_workgroup_id_z 1
		.amdhsa_system_sgpr_workgroup_info 0
		.amdhsa_system_vgpr_workitem_id 0
		.amdhsa_next_free_vgpr 10
		.amdhsa_next_free_sgpr 19
		.amdhsa_named_barrier_count 0
		.amdhsa_reserve_vcc 1
		.amdhsa_float_round_mode_32 0
		.amdhsa_float_round_mode_16_64 0
		.amdhsa_float_denorm_mode_32 3
		.amdhsa_float_denorm_mode_16_64 3
		.amdhsa_fp16_overflow 0
		.amdhsa_memory_ordered 1
		.amdhsa_forward_progress 1
		.amdhsa_inst_pref_size 9
		.amdhsa_round_robin_scheduling 0
		.amdhsa_exception_fp_ieee_invalid_op 0
		.amdhsa_exception_fp_denorm_src 0
		.amdhsa_exception_fp_ieee_div_zero 0
		.amdhsa_exception_fp_ieee_overflow 0
		.amdhsa_exception_fp_ieee_underflow 0
		.amdhsa_exception_fp_ieee_inexact 0
		.amdhsa_exception_int_div_zero 0
	.end_amdhsa_kernel
	.section	.text._ZN2at6native12_GLOBAL__N_131replication_pad_backward_kernelIfEEvN5torch10headeronly6detail27GenericPackedTensorAccessorINS5_14TensorAccessorIN3c108ArrayRefIlEET_Lm2ENS4_16DefaultPtrTraitsElEENS_6detail16IndexBoundsCheckILm3ElEESB_Lm3ESC_lEENS6_INS7_ISA_KSB_Lm2ESC_lEESG_SI_Lm3ESC_lEEiii,"axG",@progbits,_ZN2at6native12_GLOBAL__N_131replication_pad_backward_kernelIfEEvN5torch10headeronly6detail27GenericPackedTensorAccessorINS5_14TensorAccessorIN3c108ArrayRefIlEET_Lm2ENS4_16DefaultPtrTraitsElEENS_6detail16IndexBoundsCheckILm3ElEESB_Lm3ESC_lEENS6_INS7_ISA_KSB_Lm2ESC_lEESG_SI_Lm3ESC_lEEiii,comdat
.Lfunc_end24:
	.size	_ZN2at6native12_GLOBAL__N_131replication_pad_backward_kernelIfEEvN5torch10headeronly6detail27GenericPackedTensorAccessorINS5_14TensorAccessorIN3c108ArrayRefIlEET_Lm2ENS4_16DefaultPtrTraitsElEENS_6detail16IndexBoundsCheckILm3ElEESB_Lm3ESC_lEENS6_INS7_ISA_KSB_Lm2ESC_lEESG_SI_Lm3ESC_lEEiii, .Lfunc_end24-_ZN2at6native12_GLOBAL__N_131replication_pad_backward_kernelIfEEvN5torch10headeronly6detail27GenericPackedTensorAccessorINS5_14TensorAccessorIN3c108ArrayRefIlEET_Lm2ENS4_16DefaultPtrTraitsElEENS_6detail16IndexBoundsCheckILm3ElEESB_Lm3ESC_lEENS6_INS7_ISA_KSB_Lm2ESC_lEESG_SI_Lm3ESC_lEEiii
                                        ; -- End function
	.set _ZN2at6native12_GLOBAL__N_131replication_pad_backward_kernelIfEEvN5torch10headeronly6detail27GenericPackedTensorAccessorINS5_14TensorAccessorIN3c108ArrayRefIlEET_Lm2ENS4_16DefaultPtrTraitsElEENS_6detail16IndexBoundsCheckILm3ElEESB_Lm3ESC_lEENS6_INS7_ISA_KSB_Lm2ESC_lEESG_SI_Lm3ESC_lEEiii.num_vgpr, 10
	.set _ZN2at6native12_GLOBAL__N_131replication_pad_backward_kernelIfEEvN5torch10headeronly6detail27GenericPackedTensorAccessorINS5_14TensorAccessorIN3c108ArrayRefIlEET_Lm2ENS4_16DefaultPtrTraitsElEENS_6detail16IndexBoundsCheckILm3ElEESB_Lm3ESC_lEENS6_INS7_ISA_KSB_Lm2ESC_lEESG_SI_Lm3ESC_lEEiii.num_agpr, 0
	.set _ZN2at6native12_GLOBAL__N_131replication_pad_backward_kernelIfEEvN5torch10headeronly6detail27GenericPackedTensorAccessorINS5_14TensorAccessorIN3c108ArrayRefIlEET_Lm2ENS4_16DefaultPtrTraitsElEENS_6detail16IndexBoundsCheckILm3ElEESB_Lm3ESC_lEENS6_INS7_ISA_KSB_Lm2ESC_lEESG_SI_Lm3ESC_lEEiii.numbered_sgpr, 19
	.set _ZN2at6native12_GLOBAL__N_131replication_pad_backward_kernelIfEEvN5torch10headeronly6detail27GenericPackedTensorAccessorINS5_14TensorAccessorIN3c108ArrayRefIlEET_Lm2ENS4_16DefaultPtrTraitsElEENS_6detail16IndexBoundsCheckILm3ElEESB_Lm3ESC_lEENS6_INS7_ISA_KSB_Lm2ESC_lEESG_SI_Lm3ESC_lEEiii.num_named_barrier, 0
	.set _ZN2at6native12_GLOBAL__N_131replication_pad_backward_kernelIfEEvN5torch10headeronly6detail27GenericPackedTensorAccessorINS5_14TensorAccessorIN3c108ArrayRefIlEET_Lm2ENS4_16DefaultPtrTraitsElEENS_6detail16IndexBoundsCheckILm3ElEESB_Lm3ESC_lEENS6_INS7_ISA_KSB_Lm2ESC_lEESG_SI_Lm3ESC_lEEiii.private_seg_size, 0
	.set _ZN2at6native12_GLOBAL__N_131replication_pad_backward_kernelIfEEvN5torch10headeronly6detail27GenericPackedTensorAccessorINS5_14TensorAccessorIN3c108ArrayRefIlEET_Lm2ENS4_16DefaultPtrTraitsElEENS_6detail16IndexBoundsCheckILm3ElEESB_Lm3ESC_lEENS6_INS7_ISA_KSB_Lm2ESC_lEESG_SI_Lm3ESC_lEEiii.uses_vcc, 1
	.set _ZN2at6native12_GLOBAL__N_131replication_pad_backward_kernelIfEEvN5torch10headeronly6detail27GenericPackedTensorAccessorINS5_14TensorAccessorIN3c108ArrayRefIlEET_Lm2ENS4_16DefaultPtrTraitsElEENS_6detail16IndexBoundsCheckILm3ElEESB_Lm3ESC_lEENS6_INS7_ISA_KSB_Lm2ESC_lEESG_SI_Lm3ESC_lEEiii.uses_flat_scratch, 0
	.set _ZN2at6native12_GLOBAL__N_131replication_pad_backward_kernelIfEEvN5torch10headeronly6detail27GenericPackedTensorAccessorINS5_14TensorAccessorIN3c108ArrayRefIlEET_Lm2ENS4_16DefaultPtrTraitsElEENS_6detail16IndexBoundsCheckILm3ElEESB_Lm3ESC_lEENS6_INS7_ISA_KSB_Lm2ESC_lEESG_SI_Lm3ESC_lEEiii.has_dyn_sized_stack, 0
	.set _ZN2at6native12_GLOBAL__N_131replication_pad_backward_kernelIfEEvN5torch10headeronly6detail27GenericPackedTensorAccessorINS5_14TensorAccessorIN3c108ArrayRefIlEET_Lm2ENS4_16DefaultPtrTraitsElEENS_6detail16IndexBoundsCheckILm3ElEESB_Lm3ESC_lEENS6_INS7_ISA_KSB_Lm2ESC_lEESG_SI_Lm3ESC_lEEiii.has_recursion, 0
	.set _ZN2at6native12_GLOBAL__N_131replication_pad_backward_kernelIfEEvN5torch10headeronly6detail27GenericPackedTensorAccessorINS5_14TensorAccessorIN3c108ArrayRefIlEET_Lm2ENS4_16DefaultPtrTraitsElEENS_6detail16IndexBoundsCheckILm3ElEESB_Lm3ESC_lEENS6_INS7_ISA_KSB_Lm2ESC_lEESG_SI_Lm3ESC_lEEiii.has_indirect_call, 0
	.section	.AMDGPU.csdata,"",@progbits
; Kernel info:
; codeLenInByte = 1136
; TotalNumSgprs: 21
; NumVgprs: 10
; ScratchSize: 0
; MemoryBound: 0
; FloatMode: 240
; IeeeMode: 1
; LDSByteSize: 0 bytes/workgroup (compile time only)
; SGPRBlocks: 0
; VGPRBlocks: 0
; NumSGPRsForWavesPerEU: 21
; NumVGPRsForWavesPerEU: 10
; NamedBarCnt: 0
; Occupancy: 16
; WaveLimiterHint : 1
; COMPUTE_PGM_RSRC2:SCRATCH_EN: 0
; COMPUTE_PGM_RSRC2:USER_SGPR: 2
; COMPUTE_PGM_RSRC2:TRAP_HANDLER: 0
; COMPUTE_PGM_RSRC2:TGID_X_EN: 1
; COMPUTE_PGM_RSRC2:TGID_Y_EN: 1
; COMPUTE_PGM_RSRC2:TGID_Z_EN: 1
; COMPUTE_PGM_RSRC2:TIDIG_COMP_CNT: 0
	.section	.text._ZN2at6native12_GLOBAL__N_131replication_pad_backward_kernelIN3c107complexIdEEEEvN5torch10headeronly6detail27GenericPackedTensorAccessorINS8_14TensorAccessorINS3_8ArrayRefIlEET_Lm2ENS7_16DefaultPtrTraitsElEENS_6detail16IndexBoundsCheckILm3ElEESD_Lm3ESE_lEENS9_INSA_ISC_KSD_Lm2ESE_lEESI_SK_Lm3ESE_lEEiii,"axG",@progbits,_ZN2at6native12_GLOBAL__N_131replication_pad_backward_kernelIN3c107complexIdEEEEvN5torch10headeronly6detail27GenericPackedTensorAccessorINS8_14TensorAccessorINS3_8ArrayRefIlEET_Lm2ENS7_16DefaultPtrTraitsElEENS_6detail16IndexBoundsCheckILm3ElEESD_Lm3ESE_lEENS9_INSA_ISC_KSD_Lm2ESE_lEESI_SK_Lm3ESE_lEEiii,comdat
	.globl	_ZN2at6native12_GLOBAL__N_131replication_pad_backward_kernelIN3c107complexIdEEEEvN5torch10headeronly6detail27GenericPackedTensorAccessorINS8_14TensorAccessorINS3_8ArrayRefIlEET_Lm2ENS7_16DefaultPtrTraitsElEENS_6detail16IndexBoundsCheckILm3ElEESD_Lm3ESE_lEENS9_INSA_ISC_KSD_Lm2ESE_lEESI_SK_Lm3ESE_lEEiii ; -- Begin function _ZN2at6native12_GLOBAL__N_131replication_pad_backward_kernelIN3c107complexIdEEEEvN5torch10headeronly6detail27GenericPackedTensorAccessorINS8_14TensorAccessorINS3_8ArrayRefIlEET_Lm2ENS7_16DefaultPtrTraitsElEENS_6detail16IndexBoundsCheckILm3ElEESD_Lm3ESE_lEENS9_INSA_ISC_KSD_Lm2ESE_lEESI_SK_Lm3ESE_lEEiii
	.p2align	8
	.type	_ZN2at6native12_GLOBAL__N_131replication_pad_backward_kernelIN3c107complexIdEEEEvN5torch10headeronly6detail27GenericPackedTensorAccessorINS8_14TensorAccessorINS3_8ArrayRefIlEET_Lm2ENS7_16DefaultPtrTraitsElEENS_6detail16IndexBoundsCheckILm3ElEESD_Lm3ESE_lEENS9_INSA_ISC_KSD_Lm2ESE_lEESI_SK_Lm3ESE_lEEiii,@function
_ZN2at6native12_GLOBAL__N_131replication_pad_backward_kernelIN3c107complexIdEEEEvN5torch10headeronly6detail27GenericPackedTensorAccessorINS8_14TensorAccessorINS3_8ArrayRefIlEET_Lm2ENS7_16DefaultPtrTraitsElEENS_6detail16IndexBoundsCheckILm3ElEESD_Lm3ESE_lEENS9_INSA_ISC_KSD_Lm2ESE_lEESI_SK_Lm3ESE_lEEiii: ; @_ZN2at6native12_GLOBAL__N_131replication_pad_backward_kernelIN3c107complexIdEEEEvN5torch10headeronly6detail27GenericPackedTensorAccessorINS8_14TensorAccessorINS3_8ArrayRefIlEET_Lm2ENS7_16DefaultPtrTraitsElEENS_6detail16IndexBoundsCheckILm3ElEESD_Lm3ESE_lEENS9_INSA_ISC_KSD_Lm2ESE_lEESI_SK_Lm3ESE_lEEiii
; %bb.0:
	s_clause 0x1
	s_load_b32 s2, s[0:1], 0x8c
	s_load_b64 s[4:5], s[0:1], 0x50
	s_bfe_u32 s3, ttmp6, 0x4000c
	v_mov_b32_e32 v2, 0
	s_add_co_i32 s7, s3, 1
	s_and_b32 s6, ttmp6, 15
	s_mul_i32 s7, ttmp9, s7
	s_getreg_b32 s3, hwreg(HW_REG_IB_STS2, 6, 4)
	v_mov_b32_e32 v1, v2
	s_add_co_i32 s6, s6, s7
	s_wait_kmcnt 0x0
	s_and_b32 s2, s2, 0xffff
	s_cmp_eq_u32 s3, 0
	s_cselect_b32 s6, ttmp9, s6
	s_delay_alu instid0(SALU_CYCLE_1) | instskip(SKIP_1) | instid1(VALU_DEP_1)
	v_mad_nc_u64_u32 v[0:1], s2, s6, v[0:1]
	s_mov_b32 s2, exec_lo
	v_cmpx_gt_i64_e64 s[4:5], v[0:1]
	s_cbranch_execz .LBB25_6
; %bb.1:
	v_or_b32_e32 v3, s5, v1
	s_delay_alu instid0(VALU_DEP_1) | instskip(SKIP_1) | instid1(SALU_CYCLE_1)
	v_cmp_ne_u64_e32 vcc_lo, 0, v[2:3]
                                        ; implicit-def: $vgpr2_vgpr3
	s_and_saveexec_b32 s2, vcc_lo
	s_xor_b32 s6, exec_lo, s2
	s_cbranch_execz .LBB25_3
; %bb.2:
	s_cvt_f32_u32 s2, s4
	s_cvt_f32_u32 s7, s5
	s_sub_nc_u64 s[10:11], 0, s[4:5]
	s_mov_b32 s15, 0
	v_dual_mov_b32 v3, 0 :: v_dual_mov_b32 v2, v0
	s_fmamk_f32 s2, s7, 0x4f800000, s2
	s_delay_alu instid0(SALU_CYCLE_3) | instskip(NEXT) | instid1(TRANS32_DEP_1)
	v_s_rcp_f32 s2, s2
	s_mul_f32 s2, s2, 0x5f7ffffc
	s_delay_alu instid0(SALU_CYCLE_3) | instskip(NEXT) | instid1(SALU_CYCLE_3)
	s_mul_f32 s7, s2, 0x2f800000
	s_trunc_f32 s7, s7
	s_delay_alu instid0(SALU_CYCLE_3) | instskip(SKIP_1) | instid1(SALU_CYCLE_2)
	s_fmamk_f32 s2, s7, 0xcf800000, s2
	s_cvt_u32_f32 s9, s7
	s_cvt_u32_f32 s8, s2
	s_delay_alu instid0(SALU_CYCLE_3) | instskip(NEXT) | instid1(SALU_CYCLE_1)
	s_mul_u64 s[12:13], s[10:11], s[8:9]
	s_mul_hi_u32 s17, s8, s13
	s_mul_i32 s16, s8, s13
	s_mul_hi_u32 s14, s8, s12
	s_mul_i32 s7, s9, s12
	s_add_nc_u64 s[16:17], s[14:15], s[16:17]
	s_mul_hi_u32 s2, s9, s12
	s_mul_hi_u32 s18, s9, s13
	s_add_co_u32 s7, s16, s7
	s_add_co_ci_u32 s14, s17, s2
	s_mul_i32 s12, s9, s13
	s_add_co_ci_u32 s13, s18, 0
	s_delay_alu instid0(SALU_CYCLE_1) | instskip(NEXT) | instid1(SALU_CYCLE_1)
	s_add_nc_u64 s[12:13], s[14:15], s[12:13]
	s_add_co_u32 s8, s8, s12
	s_cselect_b32 s2, -1, 0
	s_delay_alu instid0(SALU_CYCLE_1) | instskip(SKIP_1) | instid1(SALU_CYCLE_1)
	s_cmp_lg_u32 s2, 0
	s_add_co_ci_u32 s9, s9, s13
	s_mul_u64 s[10:11], s[10:11], s[8:9]
	s_delay_alu instid0(SALU_CYCLE_1)
	s_mul_hi_u32 s13, s8, s11
	s_mul_i32 s12, s8, s11
	s_mul_hi_u32 s14, s8, s10
	s_mul_i32 s7, s9, s10
	s_add_nc_u64 s[12:13], s[14:15], s[12:13]
	s_mul_hi_u32 s2, s9, s10
	s_mul_hi_u32 s16, s9, s11
	s_add_co_u32 s7, s12, s7
	s_add_co_ci_u32 s14, s13, s2
	s_mul_i32 s10, s9, s11
	s_add_co_ci_u32 s11, s16, 0
	s_delay_alu instid0(SALU_CYCLE_1) | instskip(NEXT) | instid1(SALU_CYCLE_1)
	s_add_nc_u64 s[10:11], s[14:15], s[10:11]
	s_add_co_u32 s2, s8, s10
	s_cselect_b32 s7, -1, 0
	s_delay_alu instid0(SALU_CYCLE_1)
	s_cmp_lg_u32 s7, 0
	s_add_co_ci_u32 s14, s9, s11
	s_mov_b64 s[8:9], 0xffffffff
	v_mul_u64_e32 v[4:5], s[14:15], v[2:3]
	v_mul_hi_u32 v2, v0, s2
	s_and_b64 s[8:9], s[2:3], s[8:9]
	s_delay_alu instid0(VALU_DEP_1) | instskip(SKIP_1) | instid1(VALU_DEP_1)
	v_add_nc_u64_e32 v[4:5], v[2:3], v[4:5]
	v_mov_b32_e32 v2, v1
	v_mul_u64_e32 v[6:7], s[8:9], v[2:3]
	v_mul_u64_e32 v[8:9], s[14:15], v[2:3]
	s_delay_alu instid0(VALU_DEP_2) | instskip(NEXT) | instid1(VALU_DEP_3)
	v_add_co_u32 v2, vcc_lo, v4, v6
	v_add_co_ci_u32_e32 v2, vcc_lo, v5, v7, vcc_lo
	s_delay_alu instid0(VALU_DEP_3) | instskip(NEXT) | instid1(VALU_DEP_1)
	v_add_co_ci_u32_e32 v9, vcc_lo, 0, v9, vcc_lo
	v_add_nc_u64_e32 v[2:3], v[2:3], v[8:9]
	s_delay_alu instid0(VALU_DEP_1) | instskip(NEXT) | instid1(VALU_DEP_1)
	v_mul_u64_e32 v[2:3], s[4:5], v[2:3]
	v_sub_nc_u32_e32 v4, v1, v3
	s_delay_alu instid0(VALU_DEP_2) | instskip(NEXT) | instid1(VALU_DEP_1)
	v_sub_co_u32 v0, vcc_lo, v0, v2
	v_sub_co_ci_u32_e64 v1, null, v1, v3, vcc_lo
	s_delay_alu instid0(VALU_DEP_3) | instskip(NEXT) | instid1(VALU_DEP_3)
	v_subrev_co_ci_u32_e64 v2, null, s5, v4, vcc_lo
	v_sub_co_u32 v3, vcc_lo, v0, s4
	v_cmp_le_u32_e64 s2, s4, v0
	s_delay_alu instid0(VALU_DEP_3) | instskip(SKIP_1) | instid1(VALU_DEP_3)
	v_subrev_co_ci_u32_e64 v4, null, 0, v2, vcc_lo
	v_subrev_co_ci_u32_e64 v2, null, s5, v2, vcc_lo
	v_cndmask_b32_e64 v5, 0, -1, s2
	v_cmp_le_u32_e64 s2, s4, v3
	v_cmp_le_u32_e32 vcc_lo, s5, v1
	s_delay_alu instid0(VALU_DEP_2) | instskip(SKIP_3) | instid1(VALU_DEP_3)
	v_cndmask_b32_e64 v6, 0, -1, s2
	v_cmp_le_u32_e64 s2, s5, v4
	v_cndmask_b32_e64 v8, 0, -1, vcc_lo
	v_cmp_eq_u32_e32 vcc_lo, s5, v4
	v_cndmask_b32_e64 v7, 0, -1, s2
	v_cmp_eq_u32_e64 s2, s5, v1
	s_delay_alu instid0(VALU_DEP_1) | instskip(SKIP_1) | instid1(VALU_DEP_1)
	v_dual_cndmask_b32 v6, v7, v6, vcc_lo :: v_dual_cndmask_b32 v5, v8, v5, s2
	v_sub_co_u32 v7, vcc_lo, v3, s4
	v_subrev_co_ci_u32_e64 v2, null, 0, v2, vcc_lo
	s_delay_alu instid0(VALU_DEP_3) | instskip(NEXT) | instid1(VALU_DEP_2)
	v_cmp_ne_u32_e32 vcc_lo, 0, v6
	v_dual_cndmask_b32 v2, v4, v2, vcc_lo :: v_dual_cndmask_b32 v4, v3, v7, vcc_lo
	v_cmp_ne_u32_e32 vcc_lo, 0, v5
	s_delay_alu instid0(VALU_DEP_2)
	v_dual_cndmask_b32 v3, v1, v2 :: v_dual_cndmask_b32 v2, v0, v4
                                        ; implicit-def: $vgpr0_vgpr1
.LBB25_3:
	s_and_not1_saveexec_b32 s2, s6
	s_cbranch_execz .LBB25_5
; %bb.4:
	v_cvt_f32_u32_e32 v1, s4
	s_sub_co_i32 s5, 0, s4
	v_mov_b32_e32 v3, 0
	s_delay_alu instid0(VALU_DEP_2) | instskip(SKIP_1) | instid1(TRANS32_DEP_1)
	v_rcp_iflag_f32_e32 v1, v1
	v_nop
	v_mul_f32_e32 v1, 0x4f7ffffe, v1
	s_delay_alu instid0(VALU_DEP_1) | instskip(NEXT) | instid1(VALU_DEP_1)
	v_cvt_u32_f32_e32 v1, v1
	v_mul_lo_u32 v2, s5, v1
	s_delay_alu instid0(VALU_DEP_1) | instskip(NEXT) | instid1(VALU_DEP_1)
	v_mul_hi_u32 v2, v1, v2
	v_add_nc_u32_e32 v1, v1, v2
	s_delay_alu instid0(VALU_DEP_1) | instskip(NEXT) | instid1(VALU_DEP_1)
	v_mul_hi_u32 v1, v0, v1
	v_mul_lo_u32 v1, v1, s4
	s_delay_alu instid0(VALU_DEP_1) | instskip(NEXT) | instid1(VALU_DEP_1)
	v_sub_nc_u32_e32 v0, v0, v1
	v_subrev_nc_u32_e32 v1, s4, v0
	v_cmp_le_u32_e32 vcc_lo, s4, v0
	s_delay_alu instid0(VALU_DEP_2) | instskip(NEXT) | instid1(VALU_DEP_1)
	v_cndmask_b32_e32 v0, v0, v1, vcc_lo
	v_subrev_nc_u32_e32 v1, s4, v0
	v_cmp_le_u32_e32 vcc_lo, s4, v0
	s_delay_alu instid0(VALU_DEP_2)
	v_cndmask_b32_e32 v2, v0, v1, vcc_lo
.LBB25_5:
	s_or_b32 exec_lo, exec_lo, s2
	s_clause 0x1
	s_load_b64 s[4:5], s[0:1], 0x68
	s_load_b64 s[8:9], s[0:1], 0x38
	s_bfe_u32 s2, ttmp6, 0x40014
	s_bfe_u32 s11, ttmp6, 0x40010
	s_lshr_b32 s10, ttmp7, 16
	s_add_co_i32 s2, s2, 1
	s_and_b32 s15, ttmp7, 0xffff
	s_add_co_i32 s11, s11, 1
	s_mul_i32 s2, s10, s2
	s_bfe_u32 s16, ttmp6, 0x40008
	s_mul_i32 s11, s15, s11
	s_bfe_u32 s17, ttmp6, 0x40004
	s_add_co_i32 s16, s16, s2
	s_add_co_i32 s17, s17, s11
	s_cmp_eq_u32 s3, 0
	s_mov_b32 s3, 0
	s_cselect_b32 s2, s10, s16
	s_cselect_b32 s10, s15, s17
	s_mov_b32 s15, s3
	s_wait_kmcnt 0x0
	v_mul_u64_e32 v[0:1], s[4:5], v[2:3]
	s_clause 0x1
	s_load_b96 s[12:14], s[0:1], 0x70
	s_load_b128 s[4:7], s[0:1], 0x58
	s_wait_kmcnt 0x0
	s_add_co_i32 s2, s14, s2
	s_add_co_i32 s14, s13, s10
	s_mul_u64 s[4:5], s[4:5], s[2:3]
	s_mul_u64 s[6:7], s[6:7], s[14:15]
	s_lshl_b64 s[4:5], s[4:5], 4
	s_lshl_b64 s[6:7], s[6:7], 4
	s_add_nc_u64 s[4:5], s[8:9], s[4:5]
	s_delay_alu instid0(SALU_CYCLE_1)
	s_add_nc_u64 s[4:5], s[4:5], s[6:7]
	s_delay_alu instid0(VALU_DEP_1) | instid1(SALU_CYCLE_1)
	v_lshl_add_u64 v[0:1], v[0:1], 4, s[4:5]
	s_load_b256 s[4:11], s[0:1], 0x18
	s_wait_kmcnt 0x0
	s_sub_co_i32 s5, 0, s12
	s_load_b64 s[0:1], s[0:1], 0x0
	s_max_i32 s5, s5, 0
	global_load_b128 v[4:7], v[0:1], off
	s_add_co_i32 s4, s12, s4
	s_mul_u64 s[2:3], s[6:7], s[2:3]
	s_add_co_i32 s4, s4, -1
	s_lshl_b64 s[2:3], s[2:3], 4
	s_wait_xcnt 0x0
	v_maxmin_i32 v0, s12, v2, s4
	s_max_i32 s4, s12, 0
	s_wait_kmcnt 0x0
	s_add_nc_u64 s[0:1], s[0:1], s[2:3]
	s_sub_co_i32 s4, s5, s4
	s_delay_alu instid0(SALU_CYCLE_1) | instskip(SKIP_1) | instid1(SALU_CYCLE_1)
	v_add_nc_u32_e32 v0, s4, v0
	s_mul_u64 s[4:5], s[8:9], s[14:15]
	s_lshl_b64 s[2:3], s[4:5], 4
	s_delay_alu instid0(VALU_DEP_1) | instskip(SKIP_1) | instid1(VALU_DEP_1)
	v_ashrrev_i32_e32 v1, 31, v0
	s_add_nc_u64 s[0:1], s[0:1], s[2:3]
	v_mul_u64_e32 v[0:1], s[10:11], v[0:1]
	s_delay_alu instid0(VALU_DEP_1)
	v_lshl_add_u64 v[0:1], v[0:1], 4, s[0:1]
	s_wait_loadcnt 0x0
	global_atomic_add_f64 v[0:1], v[4:5], off scope:SCOPE_DEV
	s_wait_xcnt 0x0
	global_atomic_add_f64 v[0:1], v[6:7], off offset:8 scope:SCOPE_DEV
.LBB25_6:
	s_endpgm
	.section	.rodata,"a",@progbits
	.p2align	6, 0x0
	.amdhsa_kernel _ZN2at6native12_GLOBAL__N_131replication_pad_backward_kernelIN3c107complexIdEEEEvN5torch10headeronly6detail27GenericPackedTensorAccessorINS8_14TensorAccessorINS3_8ArrayRefIlEET_Lm2ENS7_16DefaultPtrTraitsElEENS_6detail16IndexBoundsCheckILm3ElEESD_Lm3ESE_lEENS9_INSA_ISC_KSD_Lm2ESE_lEESI_SK_Lm3ESE_lEEiii
		.amdhsa_group_segment_fixed_size 0
		.amdhsa_private_segment_fixed_size 0
		.amdhsa_kernarg_size 384
		.amdhsa_user_sgpr_count 2
		.amdhsa_user_sgpr_dispatch_ptr 0
		.amdhsa_user_sgpr_queue_ptr 0
		.amdhsa_user_sgpr_kernarg_segment_ptr 1
		.amdhsa_user_sgpr_dispatch_id 0
		.amdhsa_user_sgpr_kernarg_preload_length 0
		.amdhsa_user_sgpr_kernarg_preload_offset 0
		.amdhsa_user_sgpr_private_segment_size 0
		.amdhsa_wavefront_size32 1
		.amdhsa_uses_dynamic_stack 0
		.amdhsa_enable_private_segment 0
		.amdhsa_system_sgpr_workgroup_id_x 1
		.amdhsa_system_sgpr_workgroup_id_y 1
		.amdhsa_system_sgpr_workgroup_id_z 1
		.amdhsa_system_sgpr_workgroup_info 0
		.amdhsa_system_vgpr_workitem_id 0
		.amdhsa_next_free_vgpr 10
		.amdhsa_next_free_sgpr 19
		.amdhsa_named_barrier_count 0
		.amdhsa_reserve_vcc 1
		.amdhsa_float_round_mode_32 0
		.amdhsa_float_round_mode_16_64 0
		.amdhsa_float_denorm_mode_32 3
		.amdhsa_float_denorm_mode_16_64 3
		.amdhsa_fp16_overflow 0
		.amdhsa_memory_ordered 1
		.amdhsa_forward_progress 1
		.amdhsa_inst_pref_size 9
		.amdhsa_round_robin_scheduling 0
		.amdhsa_exception_fp_ieee_invalid_op 0
		.amdhsa_exception_fp_denorm_src 0
		.amdhsa_exception_fp_ieee_div_zero 0
		.amdhsa_exception_fp_ieee_overflow 0
		.amdhsa_exception_fp_ieee_underflow 0
		.amdhsa_exception_fp_ieee_inexact 0
		.amdhsa_exception_int_div_zero 0
	.end_amdhsa_kernel
	.section	.text._ZN2at6native12_GLOBAL__N_131replication_pad_backward_kernelIN3c107complexIdEEEEvN5torch10headeronly6detail27GenericPackedTensorAccessorINS8_14TensorAccessorINS3_8ArrayRefIlEET_Lm2ENS7_16DefaultPtrTraitsElEENS_6detail16IndexBoundsCheckILm3ElEESD_Lm3ESE_lEENS9_INSA_ISC_KSD_Lm2ESE_lEESI_SK_Lm3ESE_lEEiii,"axG",@progbits,_ZN2at6native12_GLOBAL__N_131replication_pad_backward_kernelIN3c107complexIdEEEEvN5torch10headeronly6detail27GenericPackedTensorAccessorINS8_14TensorAccessorINS3_8ArrayRefIlEET_Lm2ENS7_16DefaultPtrTraitsElEENS_6detail16IndexBoundsCheckILm3ElEESD_Lm3ESE_lEENS9_INSA_ISC_KSD_Lm2ESE_lEESI_SK_Lm3ESE_lEEiii,comdat
.Lfunc_end25:
	.size	_ZN2at6native12_GLOBAL__N_131replication_pad_backward_kernelIN3c107complexIdEEEEvN5torch10headeronly6detail27GenericPackedTensorAccessorINS8_14TensorAccessorINS3_8ArrayRefIlEET_Lm2ENS7_16DefaultPtrTraitsElEENS_6detail16IndexBoundsCheckILm3ElEESD_Lm3ESE_lEENS9_INSA_ISC_KSD_Lm2ESE_lEESI_SK_Lm3ESE_lEEiii, .Lfunc_end25-_ZN2at6native12_GLOBAL__N_131replication_pad_backward_kernelIN3c107complexIdEEEEvN5torch10headeronly6detail27GenericPackedTensorAccessorINS8_14TensorAccessorINS3_8ArrayRefIlEET_Lm2ENS7_16DefaultPtrTraitsElEENS_6detail16IndexBoundsCheckILm3ElEESD_Lm3ESE_lEENS9_INSA_ISC_KSD_Lm2ESE_lEESI_SK_Lm3ESE_lEEiii
                                        ; -- End function
	.set _ZN2at6native12_GLOBAL__N_131replication_pad_backward_kernelIN3c107complexIdEEEEvN5torch10headeronly6detail27GenericPackedTensorAccessorINS8_14TensorAccessorINS3_8ArrayRefIlEET_Lm2ENS7_16DefaultPtrTraitsElEENS_6detail16IndexBoundsCheckILm3ElEESD_Lm3ESE_lEENS9_INSA_ISC_KSD_Lm2ESE_lEESI_SK_Lm3ESE_lEEiii.num_vgpr, 10
	.set _ZN2at6native12_GLOBAL__N_131replication_pad_backward_kernelIN3c107complexIdEEEEvN5torch10headeronly6detail27GenericPackedTensorAccessorINS8_14TensorAccessorINS3_8ArrayRefIlEET_Lm2ENS7_16DefaultPtrTraitsElEENS_6detail16IndexBoundsCheckILm3ElEESD_Lm3ESE_lEENS9_INSA_ISC_KSD_Lm2ESE_lEESI_SK_Lm3ESE_lEEiii.num_agpr, 0
	.set _ZN2at6native12_GLOBAL__N_131replication_pad_backward_kernelIN3c107complexIdEEEEvN5torch10headeronly6detail27GenericPackedTensorAccessorINS8_14TensorAccessorINS3_8ArrayRefIlEET_Lm2ENS7_16DefaultPtrTraitsElEENS_6detail16IndexBoundsCheckILm3ElEESD_Lm3ESE_lEENS9_INSA_ISC_KSD_Lm2ESE_lEESI_SK_Lm3ESE_lEEiii.numbered_sgpr, 19
	.set _ZN2at6native12_GLOBAL__N_131replication_pad_backward_kernelIN3c107complexIdEEEEvN5torch10headeronly6detail27GenericPackedTensorAccessorINS8_14TensorAccessorINS3_8ArrayRefIlEET_Lm2ENS7_16DefaultPtrTraitsElEENS_6detail16IndexBoundsCheckILm3ElEESD_Lm3ESE_lEENS9_INSA_ISC_KSD_Lm2ESE_lEESI_SK_Lm3ESE_lEEiii.num_named_barrier, 0
	.set _ZN2at6native12_GLOBAL__N_131replication_pad_backward_kernelIN3c107complexIdEEEEvN5torch10headeronly6detail27GenericPackedTensorAccessorINS8_14TensorAccessorINS3_8ArrayRefIlEET_Lm2ENS7_16DefaultPtrTraitsElEENS_6detail16IndexBoundsCheckILm3ElEESD_Lm3ESE_lEENS9_INSA_ISC_KSD_Lm2ESE_lEESI_SK_Lm3ESE_lEEiii.private_seg_size, 0
	.set _ZN2at6native12_GLOBAL__N_131replication_pad_backward_kernelIN3c107complexIdEEEEvN5torch10headeronly6detail27GenericPackedTensorAccessorINS8_14TensorAccessorINS3_8ArrayRefIlEET_Lm2ENS7_16DefaultPtrTraitsElEENS_6detail16IndexBoundsCheckILm3ElEESD_Lm3ESE_lEENS9_INSA_ISC_KSD_Lm2ESE_lEESI_SK_Lm3ESE_lEEiii.uses_vcc, 1
	.set _ZN2at6native12_GLOBAL__N_131replication_pad_backward_kernelIN3c107complexIdEEEEvN5torch10headeronly6detail27GenericPackedTensorAccessorINS8_14TensorAccessorINS3_8ArrayRefIlEET_Lm2ENS7_16DefaultPtrTraitsElEENS_6detail16IndexBoundsCheckILm3ElEESD_Lm3ESE_lEENS9_INSA_ISC_KSD_Lm2ESE_lEESI_SK_Lm3ESE_lEEiii.uses_flat_scratch, 0
	.set _ZN2at6native12_GLOBAL__N_131replication_pad_backward_kernelIN3c107complexIdEEEEvN5torch10headeronly6detail27GenericPackedTensorAccessorINS8_14TensorAccessorINS3_8ArrayRefIlEET_Lm2ENS7_16DefaultPtrTraitsElEENS_6detail16IndexBoundsCheckILm3ElEESD_Lm3ESE_lEENS9_INSA_ISC_KSD_Lm2ESE_lEESI_SK_Lm3ESE_lEEiii.has_dyn_sized_stack, 0
	.set _ZN2at6native12_GLOBAL__N_131replication_pad_backward_kernelIN3c107complexIdEEEEvN5torch10headeronly6detail27GenericPackedTensorAccessorINS8_14TensorAccessorINS3_8ArrayRefIlEET_Lm2ENS7_16DefaultPtrTraitsElEENS_6detail16IndexBoundsCheckILm3ElEESD_Lm3ESE_lEENS9_INSA_ISC_KSD_Lm2ESE_lEESI_SK_Lm3ESE_lEEiii.has_recursion, 0
	.set _ZN2at6native12_GLOBAL__N_131replication_pad_backward_kernelIN3c107complexIdEEEEvN5torch10headeronly6detail27GenericPackedTensorAccessorINS8_14TensorAccessorINS3_8ArrayRefIlEET_Lm2ENS7_16DefaultPtrTraitsElEENS_6detail16IndexBoundsCheckILm3ElEESD_Lm3ESE_lEENS9_INSA_ISC_KSD_Lm2ESE_lEESI_SK_Lm3ESE_lEEiii.has_indirect_call, 0
	.section	.AMDGPU.csdata,"",@progbits
; Kernel info:
; codeLenInByte = 1152
; TotalNumSgprs: 21
; NumVgprs: 10
; ScratchSize: 0
; MemoryBound: 0
; FloatMode: 240
; IeeeMode: 1
; LDSByteSize: 0 bytes/workgroup (compile time only)
; SGPRBlocks: 0
; VGPRBlocks: 0
; NumSGPRsForWavesPerEU: 21
; NumVGPRsForWavesPerEU: 10
; NamedBarCnt: 0
; Occupancy: 16
; WaveLimiterHint : 1
; COMPUTE_PGM_RSRC2:SCRATCH_EN: 0
; COMPUTE_PGM_RSRC2:USER_SGPR: 2
; COMPUTE_PGM_RSRC2:TRAP_HANDLER: 0
; COMPUTE_PGM_RSRC2:TGID_X_EN: 1
; COMPUTE_PGM_RSRC2:TGID_Y_EN: 1
; COMPUTE_PGM_RSRC2:TGID_Z_EN: 1
; COMPUTE_PGM_RSRC2:TIDIG_COMP_CNT: 0
	.section	.text._ZN2at6native12_GLOBAL__N_131replication_pad_backward_kernelIN3c107complexIfEEEEvN5torch10headeronly6detail27GenericPackedTensorAccessorINS8_14TensorAccessorINS3_8ArrayRefIlEET_Lm2ENS7_16DefaultPtrTraitsElEENS_6detail16IndexBoundsCheckILm3ElEESD_Lm3ESE_lEENS9_INSA_ISC_KSD_Lm2ESE_lEESI_SK_Lm3ESE_lEEiii,"axG",@progbits,_ZN2at6native12_GLOBAL__N_131replication_pad_backward_kernelIN3c107complexIfEEEEvN5torch10headeronly6detail27GenericPackedTensorAccessorINS8_14TensorAccessorINS3_8ArrayRefIlEET_Lm2ENS7_16DefaultPtrTraitsElEENS_6detail16IndexBoundsCheckILm3ElEESD_Lm3ESE_lEENS9_INSA_ISC_KSD_Lm2ESE_lEESI_SK_Lm3ESE_lEEiii,comdat
	.globl	_ZN2at6native12_GLOBAL__N_131replication_pad_backward_kernelIN3c107complexIfEEEEvN5torch10headeronly6detail27GenericPackedTensorAccessorINS8_14TensorAccessorINS3_8ArrayRefIlEET_Lm2ENS7_16DefaultPtrTraitsElEENS_6detail16IndexBoundsCheckILm3ElEESD_Lm3ESE_lEENS9_INSA_ISC_KSD_Lm2ESE_lEESI_SK_Lm3ESE_lEEiii ; -- Begin function _ZN2at6native12_GLOBAL__N_131replication_pad_backward_kernelIN3c107complexIfEEEEvN5torch10headeronly6detail27GenericPackedTensorAccessorINS8_14TensorAccessorINS3_8ArrayRefIlEET_Lm2ENS7_16DefaultPtrTraitsElEENS_6detail16IndexBoundsCheckILm3ElEESD_Lm3ESE_lEENS9_INSA_ISC_KSD_Lm2ESE_lEESI_SK_Lm3ESE_lEEiii
	.p2align	8
	.type	_ZN2at6native12_GLOBAL__N_131replication_pad_backward_kernelIN3c107complexIfEEEEvN5torch10headeronly6detail27GenericPackedTensorAccessorINS8_14TensorAccessorINS3_8ArrayRefIlEET_Lm2ENS7_16DefaultPtrTraitsElEENS_6detail16IndexBoundsCheckILm3ElEESD_Lm3ESE_lEENS9_INSA_ISC_KSD_Lm2ESE_lEESI_SK_Lm3ESE_lEEiii,@function
_ZN2at6native12_GLOBAL__N_131replication_pad_backward_kernelIN3c107complexIfEEEEvN5torch10headeronly6detail27GenericPackedTensorAccessorINS8_14TensorAccessorINS3_8ArrayRefIlEET_Lm2ENS7_16DefaultPtrTraitsElEENS_6detail16IndexBoundsCheckILm3ElEESD_Lm3ESE_lEENS9_INSA_ISC_KSD_Lm2ESE_lEESI_SK_Lm3ESE_lEEiii: ; @_ZN2at6native12_GLOBAL__N_131replication_pad_backward_kernelIN3c107complexIfEEEEvN5torch10headeronly6detail27GenericPackedTensorAccessorINS8_14TensorAccessorINS3_8ArrayRefIlEET_Lm2ENS7_16DefaultPtrTraitsElEENS_6detail16IndexBoundsCheckILm3ElEESD_Lm3ESE_lEENS9_INSA_ISC_KSD_Lm2ESE_lEESI_SK_Lm3ESE_lEEiii
; %bb.0:
	s_clause 0x1
	s_load_b32 s2, s[0:1], 0x8c
	s_load_b64 s[4:5], s[0:1], 0x50
	s_bfe_u32 s3, ttmp6, 0x4000c
	v_mov_b32_e32 v2, 0
	s_add_co_i32 s7, s3, 1
	s_and_b32 s6, ttmp6, 15
	s_mul_i32 s7, ttmp9, s7
	s_getreg_b32 s3, hwreg(HW_REG_IB_STS2, 6, 4)
	v_mov_b32_e32 v1, v2
	s_add_co_i32 s6, s6, s7
	s_wait_kmcnt 0x0
	s_and_b32 s2, s2, 0xffff
	s_cmp_eq_u32 s3, 0
	s_cselect_b32 s6, ttmp9, s6
	s_delay_alu instid0(SALU_CYCLE_1) | instskip(SKIP_1) | instid1(VALU_DEP_1)
	v_mad_nc_u64_u32 v[0:1], s2, s6, v[0:1]
	s_mov_b32 s2, exec_lo
	v_cmpx_gt_i64_e64 s[4:5], v[0:1]
	s_cbranch_execz .LBB26_6
; %bb.1:
	v_or_b32_e32 v3, s5, v1
	s_delay_alu instid0(VALU_DEP_1) | instskip(SKIP_1) | instid1(SALU_CYCLE_1)
	v_cmp_ne_u64_e32 vcc_lo, 0, v[2:3]
                                        ; implicit-def: $vgpr2_vgpr3
	s_and_saveexec_b32 s2, vcc_lo
	s_xor_b32 s6, exec_lo, s2
	s_cbranch_execz .LBB26_3
; %bb.2:
	s_cvt_f32_u32 s2, s4
	s_cvt_f32_u32 s7, s5
	s_sub_nc_u64 s[10:11], 0, s[4:5]
	s_mov_b32 s15, 0
	v_dual_mov_b32 v3, 0 :: v_dual_mov_b32 v2, v0
	s_fmamk_f32 s2, s7, 0x4f800000, s2
	s_delay_alu instid0(SALU_CYCLE_3) | instskip(NEXT) | instid1(TRANS32_DEP_1)
	v_s_rcp_f32 s2, s2
	s_mul_f32 s2, s2, 0x5f7ffffc
	s_delay_alu instid0(SALU_CYCLE_3) | instskip(NEXT) | instid1(SALU_CYCLE_3)
	s_mul_f32 s7, s2, 0x2f800000
	s_trunc_f32 s7, s7
	s_delay_alu instid0(SALU_CYCLE_3) | instskip(SKIP_1) | instid1(SALU_CYCLE_2)
	s_fmamk_f32 s2, s7, 0xcf800000, s2
	s_cvt_u32_f32 s9, s7
	s_cvt_u32_f32 s8, s2
	s_delay_alu instid0(SALU_CYCLE_3) | instskip(NEXT) | instid1(SALU_CYCLE_1)
	s_mul_u64 s[12:13], s[10:11], s[8:9]
	s_mul_hi_u32 s17, s8, s13
	s_mul_i32 s16, s8, s13
	s_mul_hi_u32 s14, s8, s12
	s_mul_i32 s7, s9, s12
	s_add_nc_u64 s[16:17], s[14:15], s[16:17]
	s_mul_hi_u32 s2, s9, s12
	s_mul_hi_u32 s18, s9, s13
	s_add_co_u32 s7, s16, s7
	s_add_co_ci_u32 s14, s17, s2
	s_mul_i32 s12, s9, s13
	s_add_co_ci_u32 s13, s18, 0
	s_delay_alu instid0(SALU_CYCLE_1) | instskip(NEXT) | instid1(SALU_CYCLE_1)
	s_add_nc_u64 s[12:13], s[14:15], s[12:13]
	s_add_co_u32 s8, s8, s12
	s_cselect_b32 s2, -1, 0
	s_delay_alu instid0(SALU_CYCLE_1) | instskip(SKIP_1) | instid1(SALU_CYCLE_1)
	s_cmp_lg_u32 s2, 0
	s_add_co_ci_u32 s9, s9, s13
	s_mul_u64 s[10:11], s[10:11], s[8:9]
	s_delay_alu instid0(SALU_CYCLE_1)
	s_mul_hi_u32 s13, s8, s11
	s_mul_i32 s12, s8, s11
	s_mul_hi_u32 s14, s8, s10
	s_mul_i32 s7, s9, s10
	s_add_nc_u64 s[12:13], s[14:15], s[12:13]
	s_mul_hi_u32 s2, s9, s10
	s_mul_hi_u32 s16, s9, s11
	s_add_co_u32 s7, s12, s7
	s_add_co_ci_u32 s14, s13, s2
	s_mul_i32 s10, s9, s11
	s_add_co_ci_u32 s11, s16, 0
	s_delay_alu instid0(SALU_CYCLE_1) | instskip(NEXT) | instid1(SALU_CYCLE_1)
	s_add_nc_u64 s[10:11], s[14:15], s[10:11]
	s_add_co_u32 s2, s8, s10
	s_cselect_b32 s7, -1, 0
	s_delay_alu instid0(SALU_CYCLE_1)
	s_cmp_lg_u32 s7, 0
	s_add_co_ci_u32 s14, s9, s11
	s_mov_b64 s[8:9], 0xffffffff
	v_mul_u64_e32 v[4:5], s[14:15], v[2:3]
	v_mul_hi_u32 v2, v0, s2
	s_and_b64 s[8:9], s[2:3], s[8:9]
	s_delay_alu instid0(VALU_DEP_1) | instskip(SKIP_1) | instid1(VALU_DEP_1)
	v_add_nc_u64_e32 v[4:5], v[2:3], v[4:5]
	v_mov_b32_e32 v2, v1
	v_mul_u64_e32 v[6:7], s[8:9], v[2:3]
	v_mul_u64_e32 v[8:9], s[14:15], v[2:3]
	s_delay_alu instid0(VALU_DEP_2) | instskip(NEXT) | instid1(VALU_DEP_3)
	v_add_co_u32 v2, vcc_lo, v4, v6
	v_add_co_ci_u32_e32 v2, vcc_lo, v5, v7, vcc_lo
	s_delay_alu instid0(VALU_DEP_3) | instskip(NEXT) | instid1(VALU_DEP_1)
	v_add_co_ci_u32_e32 v9, vcc_lo, 0, v9, vcc_lo
	v_add_nc_u64_e32 v[2:3], v[2:3], v[8:9]
	s_delay_alu instid0(VALU_DEP_1) | instskip(NEXT) | instid1(VALU_DEP_1)
	v_mul_u64_e32 v[2:3], s[4:5], v[2:3]
	v_sub_nc_u32_e32 v4, v1, v3
	s_delay_alu instid0(VALU_DEP_2) | instskip(NEXT) | instid1(VALU_DEP_1)
	v_sub_co_u32 v0, vcc_lo, v0, v2
	v_sub_co_ci_u32_e64 v1, null, v1, v3, vcc_lo
	s_delay_alu instid0(VALU_DEP_3) | instskip(NEXT) | instid1(VALU_DEP_3)
	v_subrev_co_ci_u32_e64 v2, null, s5, v4, vcc_lo
	v_sub_co_u32 v3, vcc_lo, v0, s4
	v_cmp_le_u32_e64 s2, s4, v0
	s_delay_alu instid0(VALU_DEP_3) | instskip(SKIP_1) | instid1(VALU_DEP_3)
	v_subrev_co_ci_u32_e64 v4, null, 0, v2, vcc_lo
	v_subrev_co_ci_u32_e64 v2, null, s5, v2, vcc_lo
	v_cndmask_b32_e64 v5, 0, -1, s2
	v_cmp_le_u32_e64 s2, s4, v3
	v_cmp_le_u32_e32 vcc_lo, s5, v1
	s_delay_alu instid0(VALU_DEP_2) | instskip(SKIP_3) | instid1(VALU_DEP_3)
	v_cndmask_b32_e64 v6, 0, -1, s2
	v_cmp_le_u32_e64 s2, s5, v4
	v_cndmask_b32_e64 v8, 0, -1, vcc_lo
	v_cmp_eq_u32_e32 vcc_lo, s5, v4
	v_cndmask_b32_e64 v7, 0, -1, s2
	v_cmp_eq_u32_e64 s2, s5, v1
	s_delay_alu instid0(VALU_DEP_1) | instskip(SKIP_1) | instid1(VALU_DEP_1)
	v_dual_cndmask_b32 v6, v7, v6, vcc_lo :: v_dual_cndmask_b32 v5, v8, v5, s2
	v_sub_co_u32 v7, vcc_lo, v3, s4
	v_subrev_co_ci_u32_e64 v2, null, 0, v2, vcc_lo
	s_delay_alu instid0(VALU_DEP_3) | instskip(NEXT) | instid1(VALU_DEP_2)
	v_cmp_ne_u32_e32 vcc_lo, 0, v6
	v_dual_cndmask_b32 v2, v4, v2, vcc_lo :: v_dual_cndmask_b32 v4, v3, v7, vcc_lo
	v_cmp_ne_u32_e32 vcc_lo, 0, v5
	s_delay_alu instid0(VALU_DEP_2)
	v_dual_cndmask_b32 v3, v1, v2 :: v_dual_cndmask_b32 v2, v0, v4
                                        ; implicit-def: $vgpr0_vgpr1
.LBB26_3:
	s_and_not1_saveexec_b32 s2, s6
	s_cbranch_execz .LBB26_5
; %bb.4:
	v_cvt_f32_u32_e32 v1, s4
	s_sub_co_i32 s5, 0, s4
	v_mov_b32_e32 v3, 0
	s_delay_alu instid0(VALU_DEP_2) | instskip(SKIP_1) | instid1(TRANS32_DEP_1)
	v_rcp_iflag_f32_e32 v1, v1
	v_nop
	v_mul_f32_e32 v1, 0x4f7ffffe, v1
	s_delay_alu instid0(VALU_DEP_1) | instskip(NEXT) | instid1(VALU_DEP_1)
	v_cvt_u32_f32_e32 v1, v1
	v_mul_lo_u32 v2, s5, v1
	s_delay_alu instid0(VALU_DEP_1) | instskip(NEXT) | instid1(VALU_DEP_1)
	v_mul_hi_u32 v2, v1, v2
	v_add_nc_u32_e32 v1, v1, v2
	s_delay_alu instid0(VALU_DEP_1) | instskip(NEXT) | instid1(VALU_DEP_1)
	v_mul_hi_u32 v1, v0, v1
	v_mul_lo_u32 v1, v1, s4
	s_delay_alu instid0(VALU_DEP_1) | instskip(NEXT) | instid1(VALU_DEP_1)
	v_sub_nc_u32_e32 v0, v0, v1
	v_subrev_nc_u32_e32 v1, s4, v0
	v_cmp_le_u32_e32 vcc_lo, s4, v0
	s_delay_alu instid0(VALU_DEP_2) | instskip(NEXT) | instid1(VALU_DEP_1)
	v_cndmask_b32_e32 v0, v0, v1, vcc_lo
	v_subrev_nc_u32_e32 v1, s4, v0
	v_cmp_le_u32_e32 vcc_lo, s4, v0
	s_delay_alu instid0(VALU_DEP_2)
	v_cndmask_b32_e32 v2, v0, v1, vcc_lo
.LBB26_5:
	s_or_b32 exec_lo, exec_lo, s2
	s_clause 0x1
	s_load_b64 s[4:5], s[0:1], 0x68
	s_load_b64 s[8:9], s[0:1], 0x38
	s_bfe_u32 s2, ttmp6, 0x40014
	s_bfe_u32 s11, ttmp6, 0x40010
	s_lshr_b32 s10, ttmp7, 16
	s_add_co_i32 s2, s2, 1
	s_and_b32 s15, ttmp7, 0xffff
	s_add_co_i32 s11, s11, 1
	s_mul_i32 s2, s10, s2
	s_bfe_u32 s16, ttmp6, 0x40008
	s_mul_i32 s11, s15, s11
	s_bfe_u32 s17, ttmp6, 0x40004
	s_add_co_i32 s16, s16, s2
	s_add_co_i32 s17, s17, s11
	s_cmp_eq_u32 s3, 0
	s_mov_b32 s3, 0
	s_cselect_b32 s2, s10, s16
	s_cselect_b32 s10, s15, s17
	s_mov_b32 s15, s3
	s_wait_kmcnt 0x0
	v_mul_u64_e32 v[0:1], s[4:5], v[2:3]
	s_clause 0x1
	s_load_b96 s[12:14], s[0:1], 0x70
	s_load_b128 s[4:7], s[0:1], 0x58
	s_wait_kmcnt 0x0
	s_add_co_i32 s2, s14, s2
	s_add_co_i32 s14, s13, s10
	s_mul_u64 s[4:5], s[4:5], s[2:3]
	s_mul_u64 s[6:7], s[6:7], s[14:15]
	s_lshl_b64 s[4:5], s[4:5], 3
	s_lshl_b64 s[6:7], s[6:7], 3
	s_add_nc_u64 s[4:5], s[8:9], s[4:5]
	s_delay_alu instid0(SALU_CYCLE_1)
	s_add_nc_u64 s[4:5], s[4:5], s[6:7]
	s_delay_alu instid0(VALU_DEP_1) | instid1(SALU_CYCLE_1)
	v_lshl_add_u64 v[0:1], v[0:1], 3, s[4:5]
	s_load_b256 s[4:11], s[0:1], 0x18
	s_wait_kmcnt 0x0
	s_sub_co_i32 s5, 0, s12
	s_load_b64 s[0:1], s[0:1], 0x0
	s_max_i32 s5, s5, 0
	global_load_b64 v[0:1], v[0:1], off
	s_add_co_i32 s4, s12, s4
	s_mul_u64 s[2:3], s[6:7], s[2:3]
	s_add_co_i32 s4, s4, -1
	s_lshl_b64 s[2:3], s[2:3], 3
	v_maxmin_i32 v2, s12, v2, s4
	s_max_i32 s4, s12, 0
	s_wait_kmcnt 0x0
	s_add_nc_u64 s[0:1], s[0:1], s[2:3]
	s_sub_co_i32 s4, s5, s4
	s_delay_alu instid0(SALU_CYCLE_1) | instskip(SKIP_1) | instid1(SALU_CYCLE_1)
	v_add_nc_u32_e32 v2, s4, v2
	s_mul_u64 s[4:5], s[8:9], s[14:15]
	s_lshl_b64 s[2:3], s[4:5], 3
	s_delay_alu instid0(VALU_DEP_1) | instskip(SKIP_1) | instid1(VALU_DEP_1)
	v_ashrrev_i32_e32 v3, 31, v2
	s_add_nc_u64 s[0:1], s[0:1], s[2:3]
	v_mul_u64_e32 v[2:3], s[10:11], v[2:3]
	s_delay_alu instid0(VALU_DEP_1)
	v_lshl_add_u64 v[2:3], v[2:3], 3, s[0:1]
	s_wait_xcnt 0x0
	s_wait_loadcnt 0x0
	global_atomic_add_f32 v[2:3], v0, off scope:SCOPE_DEV
	s_wait_xcnt 0x0
	global_atomic_add_f32 v[2:3], v1, off offset:4 scope:SCOPE_DEV
.LBB26_6:
	s_endpgm
	.section	.rodata,"a",@progbits
	.p2align	6, 0x0
	.amdhsa_kernel _ZN2at6native12_GLOBAL__N_131replication_pad_backward_kernelIN3c107complexIfEEEEvN5torch10headeronly6detail27GenericPackedTensorAccessorINS8_14TensorAccessorINS3_8ArrayRefIlEET_Lm2ENS7_16DefaultPtrTraitsElEENS_6detail16IndexBoundsCheckILm3ElEESD_Lm3ESE_lEENS9_INSA_ISC_KSD_Lm2ESE_lEESI_SK_Lm3ESE_lEEiii
		.amdhsa_group_segment_fixed_size 0
		.amdhsa_private_segment_fixed_size 0
		.amdhsa_kernarg_size 384
		.amdhsa_user_sgpr_count 2
		.amdhsa_user_sgpr_dispatch_ptr 0
		.amdhsa_user_sgpr_queue_ptr 0
		.amdhsa_user_sgpr_kernarg_segment_ptr 1
		.amdhsa_user_sgpr_dispatch_id 0
		.amdhsa_user_sgpr_kernarg_preload_length 0
		.amdhsa_user_sgpr_kernarg_preload_offset 0
		.amdhsa_user_sgpr_private_segment_size 0
		.amdhsa_wavefront_size32 1
		.amdhsa_uses_dynamic_stack 0
		.amdhsa_enable_private_segment 0
		.amdhsa_system_sgpr_workgroup_id_x 1
		.amdhsa_system_sgpr_workgroup_id_y 1
		.amdhsa_system_sgpr_workgroup_id_z 1
		.amdhsa_system_sgpr_workgroup_info 0
		.amdhsa_system_vgpr_workitem_id 0
		.amdhsa_next_free_vgpr 10
		.amdhsa_next_free_sgpr 19
		.amdhsa_named_barrier_count 0
		.amdhsa_reserve_vcc 1
		.amdhsa_float_round_mode_32 0
		.amdhsa_float_round_mode_16_64 0
		.amdhsa_float_denorm_mode_32 3
		.amdhsa_float_denorm_mode_16_64 3
		.amdhsa_fp16_overflow 0
		.amdhsa_memory_ordered 1
		.amdhsa_forward_progress 1
		.amdhsa_inst_pref_size 9
		.amdhsa_round_robin_scheduling 0
		.amdhsa_exception_fp_ieee_invalid_op 0
		.amdhsa_exception_fp_denorm_src 0
		.amdhsa_exception_fp_ieee_div_zero 0
		.amdhsa_exception_fp_ieee_overflow 0
		.amdhsa_exception_fp_ieee_underflow 0
		.amdhsa_exception_fp_ieee_inexact 0
		.amdhsa_exception_int_div_zero 0
	.end_amdhsa_kernel
	.section	.text._ZN2at6native12_GLOBAL__N_131replication_pad_backward_kernelIN3c107complexIfEEEEvN5torch10headeronly6detail27GenericPackedTensorAccessorINS8_14TensorAccessorINS3_8ArrayRefIlEET_Lm2ENS7_16DefaultPtrTraitsElEENS_6detail16IndexBoundsCheckILm3ElEESD_Lm3ESE_lEENS9_INSA_ISC_KSD_Lm2ESE_lEESI_SK_Lm3ESE_lEEiii,"axG",@progbits,_ZN2at6native12_GLOBAL__N_131replication_pad_backward_kernelIN3c107complexIfEEEEvN5torch10headeronly6detail27GenericPackedTensorAccessorINS8_14TensorAccessorINS3_8ArrayRefIlEET_Lm2ENS7_16DefaultPtrTraitsElEENS_6detail16IndexBoundsCheckILm3ElEESD_Lm3ESE_lEENS9_INSA_ISC_KSD_Lm2ESE_lEESI_SK_Lm3ESE_lEEiii,comdat
.Lfunc_end26:
	.size	_ZN2at6native12_GLOBAL__N_131replication_pad_backward_kernelIN3c107complexIfEEEEvN5torch10headeronly6detail27GenericPackedTensorAccessorINS8_14TensorAccessorINS3_8ArrayRefIlEET_Lm2ENS7_16DefaultPtrTraitsElEENS_6detail16IndexBoundsCheckILm3ElEESD_Lm3ESE_lEENS9_INSA_ISC_KSD_Lm2ESE_lEESI_SK_Lm3ESE_lEEiii, .Lfunc_end26-_ZN2at6native12_GLOBAL__N_131replication_pad_backward_kernelIN3c107complexIfEEEEvN5torch10headeronly6detail27GenericPackedTensorAccessorINS8_14TensorAccessorINS3_8ArrayRefIlEET_Lm2ENS7_16DefaultPtrTraitsElEENS_6detail16IndexBoundsCheckILm3ElEESD_Lm3ESE_lEENS9_INSA_ISC_KSD_Lm2ESE_lEESI_SK_Lm3ESE_lEEiii
                                        ; -- End function
	.set _ZN2at6native12_GLOBAL__N_131replication_pad_backward_kernelIN3c107complexIfEEEEvN5torch10headeronly6detail27GenericPackedTensorAccessorINS8_14TensorAccessorINS3_8ArrayRefIlEET_Lm2ENS7_16DefaultPtrTraitsElEENS_6detail16IndexBoundsCheckILm3ElEESD_Lm3ESE_lEENS9_INSA_ISC_KSD_Lm2ESE_lEESI_SK_Lm3ESE_lEEiii.num_vgpr, 10
	.set _ZN2at6native12_GLOBAL__N_131replication_pad_backward_kernelIN3c107complexIfEEEEvN5torch10headeronly6detail27GenericPackedTensorAccessorINS8_14TensorAccessorINS3_8ArrayRefIlEET_Lm2ENS7_16DefaultPtrTraitsElEENS_6detail16IndexBoundsCheckILm3ElEESD_Lm3ESE_lEENS9_INSA_ISC_KSD_Lm2ESE_lEESI_SK_Lm3ESE_lEEiii.num_agpr, 0
	.set _ZN2at6native12_GLOBAL__N_131replication_pad_backward_kernelIN3c107complexIfEEEEvN5torch10headeronly6detail27GenericPackedTensorAccessorINS8_14TensorAccessorINS3_8ArrayRefIlEET_Lm2ENS7_16DefaultPtrTraitsElEENS_6detail16IndexBoundsCheckILm3ElEESD_Lm3ESE_lEENS9_INSA_ISC_KSD_Lm2ESE_lEESI_SK_Lm3ESE_lEEiii.numbered_sgpr, 19
	.set _ZN2at6native12_GLOBAL__N_131replication_pad_backward_kernelIN3c107complexIfEEEEvN5torch10headeronly6detail27GenericPackedTensorAccessorINS8_14TensorAccessorINS3_8ArrayRefIlEET_Lm2ENS7_16DefaultPtrTraitsElEENS_6detail16IndexBoundsCheckILm3ElEESD_Lm3ESE_lEENS9_INSA_ISC_KSD_Lm2ESE_lEESI_SK_Lm3ESE_lEEiii.num_named_barrier, 0
	.set _ZN2at6native12_GLOBAL__N_131replication_pad_backward_kernelIN3c107complexIfEEEEvN5torch10headeronly6detail27GenericPackedTensorAccessorINS8_14TensorAccessorINS3_8ArrayRefIlEET_Lm2ENS7_16DefaultPtrTraitsElEENS_6detail16IndexBoundsCheckILm3ElEESD_Lm3ESE_lEENS9_INSA_ISC_KSD_Lm2ESE_lEESI_SK_Lm3ESE_lEEiii.private_seg_size, 0
	.set _ZN2at6native12_GLOBAL__N_131replication_pad_backward_kernelIN3c107complexIfEEEEvN5torch10headeronly6detail27GenericPackedTensorAccessorINS8_14TensorAccessorINS3_8ArrayRefIlEET_Lm2ENS7_16DefaultPtrTraitsElEENS_6detail16IndexBoundsCheckILm3ElEESD_Lm3ESE_lEENS9_INSA_ISC_KSD_Lm2ESE_lEESI_SK_Lm3ESE_lEEiii.uses_vcc, 1
	.set _ZN2at6native12_GLOBAL__N_131replication_pad_backward_kernelIN3c107complexIfEEEEvN5torch10headeronly6detail27GenericPackedTensorAccessorINS8_14TensorAccessorINS3_8ArrayRefIlEET_Lm2ENS7_16DefaultPtrTraitsElEENS_6detail16IndexBoundsCheckILm3ElEESD_Lm3ESE_lEENS9_INSA_ISC_KSD_Lm2ESE_lEESI_SK_Lm3ESE_lEEiii.uses_flat_scratch, 0
	.set _ZN2at6native12_GLOBAL__N_131replication_pad_backward_kernelIN3c107complexIfEEEEvN5torch10headeronly6detail27GenericPackedTensorAccessorINS8_14TensorAccessorINS3_8ArrayRefIlEET_Lm2ENS7_16DefaultPtrTraitsElEENS_6detail16IndexBoundsCheckILm3ElEESD_Lm3ESE_lEENS9_INSA_ISC_KSD_Lm2ESE_lEESI_SK_Lm3ESE_lEEiii.has_dyn_sized_stack, 0
	.set _ZN2at6native12_GLOBAL__N_131replication_pad_backward_kernelIN3c107complexIfEEEEvN5torch10headeronly6detail27GenericPackedTensorAccessorINS8_14TensorAccessorINS3_8ArrayRefIlEET_Lm2ENS7_16DefaultPtrTraitsElEENS_6detail16IndexBoundsCheckILm3ElEESD_Lm3ESE_lEENS9_INSA_ISC_KSD_Lm2ESE_lEESI_SK_Lm3ESE_lEEiii.has_recursion, 0
	.set _ZN2at6native12_GLOBAL__N_131replication_pad_backward_kernelIN3c107complexIfEEEEvN5torch10headeronly6detail27GenericPackedTensorAccessorINS8_14TensorAccessorINS3_8ArrayRefIlEET_Lm2ENS7_16DefaultPtrTraitsElEENS_6detail16IndexBoundsCheckILm3ElEESD_Lm3ESE_lEENS9_INSA_ISC_KSD_Lm2ESE_lEESI_SK_Lm3ESE_lEEiii.has_indirect_call, 0
	.section	.AMDGPU.csdata,"",@progbits
; Kernel info:
; codeLenInByte = 1152
; TotalNumSgprs: 21
; NumVgprs: 10
; ScratchSize: 0
; MemoryBound: 0
; FloatMode: 240
; IeeeMode: 1
; LDSByteSize: 0 bytes/workgroup (compile time only)
; SGPRBlocks: 0
; VGPRBlocks: 0
; NumSGPRsForWavesPerEU: 21
; NumVGPRsForWavesPerEU: 10
; NamedBarCnt: 0
; Occupancy: 16
; WaveLimiterHint : 1
; COMPUTE_PGM_RSRC2:SCRATCH_EN: 0
; COMPUTE_PGM_RSRC2:USER_SGPR: 2
; COMPUTE_PGM_RSRC2:TRAP_HANDLER: 0
; COMPUTE_PGM_RSRC2:TGID_X_EN: 1
; COMPUTE_PGM_RSRC2:TGID_Y_EN: 1
; COMPUTE_PGM_RSRC2:TGID_Z_EN: 1
; COMPUTE_PGM_RSRC2:TIDIG_COMP_CNT: 0
	.section	.text._ZN2at6native12_GLOBAL__N_131replication_pad_backward_kernelIN3c104HalfEEEvN5torch10headeronly6detail27GenericPackedTensorAccessorINS7_14TensorAccessorINS3_8ArrayRefIlEET_Lm2ENS6_16DefaultPtrTraitsElEENS_6detail16IndexBoundsCheckILm3ElEESC_Lm3ESD_lEENS8_INS9_ISB_KSC_Lm2ESD_lEESH_SJ_Lm3ESD_lEEiii,"axG",@progbits,_ZN2at6native12_GLOBAL__N_131replication_pad_backward_kernelIN3c104HalfEEEvN5torch10headeronly6detail27GenericPackedTensorAccessorINS7_14TensorAccessorINS3_8ArrayRefIlEET_Lm2ENS6_16DefaultPtrTraitsElEENS_6detail16IndexBoundsCheckILm3ElEESC_Lm3ESD_lEENS8_INS9_ISB_KSC_Lm2ESD_lEESH_SJ_Lm3ESD_lEEiii,comdat
	.globl	_ZN2at6native12_GLOBAL__N_131replication_pad_backward_kernelIN3c104HalfEEEvN5torch10headeronly6detail27GenericPackedTensorAccessorINS7_14TensorAccessorINS3_8ArrayRefIlEET_Lm2ENS6_16DefaultPtrTraitsElEENS_6detail16IndexBoundsCheckILm3ElEESC_Lm3ESD_lEENS8_INS9_ISB_KSC_Lm2ESD_lEESH_SJ_Lm3ESD_lEEiii ; -- Begin function _ZN2at6native12_GLOBAL__N_131replication_pad_backward_kernelIN3c104HalfEEEvN5torch10headeronly6detail27GenericPackedTensorAccessorINS7_14TensorAccessorINS3_8ArrayRefIlEET_Lm2ENS6_16DefaultPtrTraitsElEENS_6detail16IndexBoundsCheckILm3ElEESC_Lm3ESD_lEENS8_INS9_ISB_KSC_Lm2ESD_lEESH_SJ_Lm3ESD_lEEiii
	.p2align	8
	.type	_ZN2at6native12_GLOBAL__N_131replication_pad_backward_kernelIN3c104HalfEEEvN5torch10headeronly6detail27GenericPackedTensorAccessorINS7_14TensorAccessorINS3_8ArrayRefIlEET_Lm2ENS6_16DefaultPtrTraitsElEENS_6detail16IndexBoundsCheckILm3ElEESC_Lm3ESD_lEENS8_INS9_ISB_KSC_Lm2ESD_lEESH_SJ_Lm3ESD_lEEiii,@function
_ZN2at6native12_GLOBAL__N_131replication_pad_backward_kernelIN3c104HalfEEEvN5torch10headeronly6detail27GenericPackedTensorAccessorINS7_14TensorAccessorINS3_8ArrayRefIlEET_Lm2ENS6_16DefaultPtrTraitsElEENS_6detail16IndexBoundsCheckILm3ElEESC_Lm3ESD_lEENS8_INS9_ISB_KSC_Lm2ESD_lEESH_SJ_Lm3ESD_lEEiii: ; @_ZN2at6native12_GLOBAL__N_131replication_pad_backward_kernelIN3c104HalfEEEvN5torch10headeronly6detail27GenericPackedTensorAccessorINS7_14TensorAccessorINS3_8ArrayRefIlEET_Lm2ENS6_16DefaultPtrTraitsElEENS_6detail16IndexBoundsCheckILm3ElEESC_Lm3ESD_lEENS8_INS9_ISB_KSC_Lm2ESD_lEESH_SJ_Lm3ESD_lEEiii
; %bb.0:
	s_clause 0x1
	s_load_b32 s2, s[0:1], 0x8c
	s_load_b64 s[4:5], s[0:1], 0x50
	s_bfe_u32 s3, ttmp6, 0x4000c
	v_mov_b32_e32 v2, 0
	s_add_co_i32 s7, s3, 1
	s_and_b32 s6, ttmp6, 15
	s_mul_i32 s7, ttmp9, s7
	s_getreg_b32 s3, hwreg(HW_REG_IB_STS2, 6, 4)
	v_mov_b32_e32 v1, v2
	s_add_co_i32 s6, s6, s7
	s_wait_kmcnt 0x0
	s_and_b32 s2, s2, 0xffff
	s_cmp_eq_u32 s3, 0
	s_cselect_b32 s6, ttmp9, s6
	s_delay_alu instid0(SALU_CYCLE_1) | instskip(SKIP_1) | instid1(VALU_DEP_1)
	v_mad_nc_u64_u32 v[0:1], s2, s6, v[0:1]
	s_mov_b32 s2, exec_lo
	v_cmpx_gt_i64_e64 s[4:5], v[0:1]
	s_cbranch_execz .LBB27_11
; %bb.1:
	v_or_b32_e32 v3, s5, v1
	s_delay_alu instid0(VALU_DEP_1) | instskip(SKIP_1) | instid1(SALU_CYCLE_1)
	v_cmp_ne_u64_e32 vcc_lo, 0, v[2:3]
                                        ; implicit-def: $vgpr2_vgpr3
	s_and_saveexec_b32 s2, vcc_lo
	s_xor_b32 s6, exec_lo, s2
	s_cbranch_execz .LBB27_3
; %bb.2:
	s_cvt_f32_u32 s2, s4
	s_cvt_f32_u32 s7, s5
	s_sub_nc_u64 s[10:11], 0, s[4:5]
	s_mov_b32 s15, 0
	v_dual_mov_b32 v3, 0 :: v_dual_mov_b32 v2, v0
	s_fmamk_f32 s2, s7, 0x4f800000, s2
	s_delay_alu instid0(SALU_CYCLE_3) | instskip(NEXT) | instid1(TRANS32_DEP_1)
	v_s_rcp_f32 s2, s2
	s_mul_f32 s2, s2, 0x5f7ffffc
	s_delay_alu instid0(SALU_CYCLE_3) | instskip(NEXT) | instid1(SALU_CYCLE_3)
	s_mul_f32 s7, s2, 0x2f800000
	s_trunc_f32 s7, s7
	s_delay_alu instid0(SALU_CYCLE_3) | instskip(SKIP_1) | instid1(SALU_CYCLE_2)
	s_fmamk_f32 s2, s7, 0xcf800000, s2
	s_cvt_u32_f32 s9, s7
	s_cvt_u32_f32 s8, s2
	s_delay_alu instid0(SALU_CYCLE_3) | instskip(NEXT) | instid1(SALU_CYCLE_1)
	s_mul_u64 s[12:13], s[10:11], s[8:9]
	s_mul_hi_u32 s17, s8, s13
	s_mul_i32 s16, s8, s13
	s_mul_hi_u32 s14, s8, s12
	s_mul_i32 s7, s9, s12
	s_add_nc_u64 s[16:17], s[14:15], s[16:17]
	s_mul_hi_u32 s2, s9, s12
	s_mul_hi_u32 s18, s9, s13
	s_add_co_u32 s7, s16, s7
	s_add_co_ci_u32 s14, s17, s2
	s_mul_i32 s12, s9, s13
	s_add_co_ci_u32 s13, s18, 0
	s_delay_alu instid0(SALU_CYCLE_1) | instskip(NEXT) | instid1(SALU_CYCLE_1)
	s_add_nc_u64 s[12:13], s[14:15], s[12:13]
	s_add_co_u32 s8, s8, s12
	s_cselect_b32 s2, -1, 0
	s_delay_alu instid0(SALU_CYCLE_1) | instskip(SKIP_1) | instid1(SALU_CYCLE_1)
	s_cmp_lg_u32 s2, 0
	s_add_co_ci_u32 s9, s9, s13
	s_mul_u64 s[10:11], s[10:11], s[8:9]
	s_delay_alu instid0(SALU_CYCLE_1)
	s_mul_hi_u32 s13, s8, s11
	s_mul_i32 s12, s8, s11
	s_mul_hi_u32 s14, s8, s10
	s_mul_i32 s7, s9, s10
	s_add_nc_u64 s[12:13], s[14:15], s[12:13]
	s_mul_hi_u32 s2, s9, s10
	s_mul_hi_u32 s16, s9, s11
	s_add_co_u32 s7, s12, s7
	s_add_co_ci_u32 s14, s13, s2
	s_mul_i32 s10, s9, s11
	s_add_co_ci_u32 s11, s16, 0
	s_delay_alu instid0(SALU_CYCLE_1) | instskip(NEXT) | instid1(SALU_CYCLE_1)
	s_add_nc_u64 s[10:11], s[14:15], s[10:11]
	s_add_co_u32 s2, s8, s10
	s_cselect_b32 s7, -1, 0
	s_delay_alu instid0(SALU_CYCLE_1)
	s_cmp_lg_u32 s7, 0
	s_add_co_ci_u32 s14, s9, s11
	s_mov_b64 s[8:9], 0xffffffff
	v_mul_u64_e32 v[4:5], s[14:15], v[2:3]
	v_mul_hi_u32 v2, v0, s2
	s_and_b64 s[8:9], s[2:3], s[8:9]
	s_delay_alu instid0(VALU_DEP_1) | instskip(SKIP_1) | instid1(VALU_DEP_1)
	v_add_nc_u64_e32 v[4:5], v[2:3], v[4:5]
	v_mov_b32_e32 v2, v1
	v_mul_u64_e32 v[6:7], s[8:9], v[2:3]
	v_mul_u64_e32 v[8:9], s[14:15], v[2:3]
	s_delay_alu instid0(VALU_DEP_2) | instskip(NEXT) | instid1(VALU_DEP_3)
	v_add_co_u32 v2, vcc_lo, v4, v6
	v_add_co_ci_u32_e32 v2, vcc_lo, v5, v7, vcc_lo
	s_delay_alu instid0(VALU_DEP_3) | instskip(NEXT) | instid1(VALU_DEP_1)
	v_add_co_ci_u32_e32 v9, vcc_lo, 0, v9, vcc_lo
	v_add_nc_u64_e32 v[2:3], v[2:3], v[8:9]
	s_delay_alu instid0(VALU_DEP_1) | instskip(NEXT) | instid1(VALU_DEP_1)
	v_mul_u64_e32 v[2:3], s[4:5], v[2:3]
	v_sub_nc_u32_e32 v4, v1, v3
	s_delay_alu instid0(VALU_DEP_2) | instskip(NEXT) | instid1(VALU_DEP_1)
	v_sub_co_u32 v0, vcc_lo, v0, v2
	v_sub_co_ci_u32_e64 v1, null, v1, v3, vcc_lo
	s_delay_alu instid0(VALU_DEP_3) | instskip(NEXT) | instid1(VALU_DEP_3)
	v_subrev_co_ci_u32_e64 v2, null, s5, v4, vcc_lo
	v_sub_co_u32 v3, vcc_lo, v0, s4
	v_cmp_le_u32_e64 s2, s4, v0
	s_delay_alu instid0(VALU_DEP_3) | instskip(SKIP_1) | instid1(VALU_DEP_3)
	v_subrev_co_ci_u32_e64 v4, null, 0, v2, vcc_lo
	v_subrev_co_ci_u32_e64 v2, null, s5, v2, vcc_lo
	v_cndmask_b32_e64 v5, 0, -1, s2
	v_cmp_le_u32_e64 s2, s4, v3
	v_cmp_le_u32_e32 vcc_lo, s5, v1
	s_delay_alu instid0(VALU_DEP_2) | instskip(SKIP_3) | instid1(VALU_DEP_3)
	v_cndmask_b32_e64 v6, 0, -1, s2
	v_cmp_le_u32_e64 s2, s5, v4
	v_cndmask_b32_e64 v8, 0, -1, vcc_lo
	v_cmp_eq_u32_e32 vcc_lo, s5, v4
	v_cndmask_b32_e64 v7, 0, -1, s2
	v_cmp_eq_u32_e64 s2, s5, v1
	s_delay_alu instid0(VALU_DEP_1) | instskip(SKIP_1) | instid1(VALU_DEP_1)
	v_dual_cndmask_b32 v6, v7, v6, vcc_lo :: v_dual_cndmask_b32 v5, v8, v5, s2
	v_sub_co_u32 v7, vcc_lo, v3, s4
	v_subrev_co_ci_u32_e64 v2, null, 0, v2, vcc_lo
	s_delay_alu instid0(VALU_DEP_3) | instskip(NEXT) | instid1(VALU_DEP_2)
	v_cmp_ne_u32_e32 vcc_lo, 0, v6
	v_dual_cndmask_b32 v2, v4, v2, vcc_lo :: v_dual_cndmask_b32 v4, v3, v7, vcc_lo
	v_cmp_ne_u32_e32 vcc_lo, 0, v5
	s_delay_alu instid0(VALU_DEP_2)
	v_dual_cndmask_b32 v3, v1, v2 :: v_dual_cndmask_b32 v2, v0, v4
                                        ; implicit-def: $vgpr0_vgpr1
.LBB27_3:
	s_and_not1_saveexec_b32 s2, s6
	s_cbranch_execz .LBB27_5
; %bb.4:
	v_cvt_f32_u32_e32 v1, s4
	s_sub_co_i32 s5, 0, s4
	v_mov_b32_e32 v3, 0
	s_delay_alu instid0(VALU_DEP_2) | instskip(SKIP_1) | instid1(TRANS32_DEP_1)
	v_rcp_iflag_f32_e32 v1, v1
	v_nop
	v_mul_f32_e32 v1, 0x4f7ffffe, v1
	s_delay_alu instid0(VALU_DEP_1) | instskip(NEXT) | instid1(VALU_DEP_1)
	v_cvt_u32_f32_e32 v1, v1
	v_mul_lo_u32 v2, s5, v1
	s_delay_alu instid0(VALU_DEP_1) | instskip(NEXT) | instid1(VALU_DEP_1)
	v_mul_hi_u32 v2, v1, v2
	v_add_nc_u32_e32 v1, v1, v2
	s_delay_alu instid0(VALU_DEP_1) | instskip(NEXT) | instid1(VALU_DEP_1)
	v_mul_hi_u32 v1, v0, v1
	v_mul_lo_u32 v1, v1, s4
	s_delay_alu instid0(VALU_DEP_1) | instskip(NEXT) | instid1(VALU_DEP_1)
	v_sub_nc_u32_e32 v0, v0, v1
	v_subrev_nc_u32_e32 v1, s4, v0
	v_cmp_le_u32_e32 vcc_lo, s4, v0
	s_delay_alu instid0(VALU_DEP_2) | instskip(NEXT) | instid1(VALU_DEP_1)
	v_cndmask_b32_e32 v0, v0, v1, vcc_lo
	v_subrev_nc_u32_e32 v1, s4, v0
	v_cmp_le_u32_e32 vcc_lo, s4, v0
	s_delay_alu instid0(VALU_DEP_2)
	v_cndmask_b32_e32 v2, v0, v1, vcc_lo
.LBB27_5:
	s_or_b32 exec_lo, exec_lo, s2
	s_clause 0x1
	s_load_b96 s[12:14], s[0:1], 0x70
	s_load_b256 s[4:11], s[0:1], 0x18
	s_wait_kmcnt 0x0
	s_bfe_u32 s5, ttmp6, 0x40014
	s_bfe_u32 s16, ttmp6, 0x40010
	s_lshr_b32 s2, ttmp7, 16
	s_and_b32 s18, ttmp7, 0xffff
	s_add_co_i32 s5, s5, 1
	s_add_co_i32 s16, s16, 1
	s_bfe_u32 s15, ttmp6, 0x40008
	s_bfe_u32 s17, ttmp6, 0x40004
	s_mul_i32 s5, s2, s5
	s_mul_i32 s16, s18, s16
	s_add_co_i32 s15, s15, s5
	s_add_co_i32 s5, s17, s16
	s_cmp_eq_u32 s3, 0
	s_load_b64 s[16:17], s[0:1], 0x68
	s_cselect_b32 s20, s18, s5
	s_cselect_b32 s2, s2, s15
	v_mov_b32_e32 v7, 0
	s_max_i32 s5, s12, 0
	s_add_co_i32 s3, s12, s4
	s_sub_co_i32 s4, 0, s12
	s_add_co_i32 s3, s3, -1
	s_add_co_i32 s2, s14, s2
	v_maxmin_i32 v0, s12, v2, s3
	s_max_i32 s3, s4, 0
	s_delay_alu instid0(SALU_CYCLE_1) | instskip(SKIP_1) | instid1(VALU_DEP_1)
	s_sub_co_i32 s3, s3, s5
	s_load_b64 s[4:5], s[0:1], 0x0
	v_add_nc_u32_e32 v0, s3, v0
	s_mov_b32 s3, 0
	s_delay_alu instid0(SALU_CYCLE_1) | instskip(SKIP_4) | instid1(VALU_DEP_1)
	s_mul_u64 s[6:7], s[6:7], s[2:3]
	s_wait_kmcnt 0x0
	v_mul_u64_e32 v[2:3], s[16:17], v[2:3]
	v_ashrrev_i32_e32 v1, 31, v0
	s_lshl_b64 s[6:7], s[6:7], 1
	v_mul_u64_e32 v[0:1], s[10:11], v[0:1]
	s_clause 0x1
	s_load_b64 s[10:11], s[0:1], 0x38
	s_load_b128 s[16:19], s[0:1], 0x58
	s_wait_xcnt 0x0
	s_mov_b32 s1, s3
	s_add_co_i32 s0, s13, s20
	s_delay_alu instid0(SALU_CYCLE_1) | instskip(NEXT) | instid1(SALU_CYCLE_1)
	s_mul_u64 s[8:9], s[8:9], s[0:1]
	s_lshl_b64 s[8:9], s[8:9], 1
	s_add_nc_u64 s[4:5], s[4:5], s[6:7]
	s_delay_alu instid0(SALU_CYCLE_1) | instskip(SKIP_2) | instid1(SALU_CYCLE_1)
	s_add_nc_u64 s[4:5], s[4:5], s[8:9]
	s_wait_kmcnt 0x0
	s_mul_u64 s[0:1], s[18:19], s[0:1]
	s_lshl_b64 s[0:1], s[0:1], 1
	s_delay_alu instid0(VALU_DEP_1) | instskip(SKIP_1) | instid1(SALU_CYCLE_1)
	v_lshl_add_u64 v[0:1], v[0:1], 1, s[4:5]
	s_mul_u64 s[4:5], s[16:17], s[2:3]
	s_lshl_b64 s[4:5], s[4:5], 1
	s_delay_alu instid0(VALU_DEP_1) | instskip(SKIP_1) | instid1(SALU_CYCLE_1)
	v_and_b32_e32 v6, 2, v0
	s_add_nc_u64 s[4:5], s[10:11], s[4:5]
	s_add_nc_u64 s[0:1], s[4:5], s[0:1]
	s_delay_alu instid0(VALU_DEP_1) | instskip(SKIP_3) | instid1(VALU_DEP_4)
	v_sub_nc_u64_e32 v[4:5], 0, v[6:7]
	v_lshl_add_u64 v[8:9], v[2:3], 1, s[0:1]
	v_cmp_ne_u32_e64 s0, 0, v6
	v_cmp_eq_u64_e32 vcc_lo, 0, v[6:7]
	v_add_nc_u64_e32 v[0:1], v[0:1], v[4:5]
	global_load_u16 v4, v[8:9], off
	global_load_b32 v3, v[0:1], off
	s_branch .LBB27_7
.LBB27_6:                               ;   in Loop: Header=BB27_7 Depth=1
	s_or_b32 exec_lo, exec_lo, s1
	global_atomic_cmpswap_b32 v2, v[0:1], v[2:3], off th:TH_ATOMIC_RETURN scope:SCOPE_DEV
	s_wait_loadcnt 0x0
	v_cmp_eq_u32_e64 s1, v3, v2
	v_mov_b32_e32 v3, v2
	s_or_b32 s3, s1, s3
	s_delay_alu instid0(SALU_CYCLE_1)
	s_and_not1_b32 exec_lo, exec_lo, s3
	s_cbranch_execz .LBB27_11
.LBB27_7:                               ; =>This Inner Loop Header: Depth=1
	s_wait_loadcnt 0x0
	v_lshrrev_b32_e32 v2, 16, v3
	s_delay_alu instid0(VALU_DEP_1) | instskip(NEXT) | instid1(VALU_DEP_1)
	v_cndmask_b32_e32 v2, v2, v3, vcc_lo
	v_add_f16_e32 v2, v4, v2
	s_delay_alu instid0(VALU_DEP_1) | instskip(SKIP_1) | instid1(SALU_CYCLE_1)
	v_and_b32_e32 v5, 0xffff, v2
	s_and_saveexec_b32 s1, s0
	s_xor_b32 s1, exec_lo, s1
; %bb.8:                                ;   in Loop: Header=BB27_7 Depth=1
	v_and_b32_e32 v2, 0xffff, v3
	s_delay_alu instid0(VALU_DEP_1)
	v_lshl_or_b32 v2, v5, 16, v2
                                        ; implicit-def: $vgpr5
; %bb.9:                                ;   in Loop: Header=BB27_7 Depth=1
	s_and_not1_saveexec_b32 s1, s1
	s_cbranch_execz .LBB27_6
; %bb.10:                               ;   in Loop: Header=BB27_7 Depth=1
	v_and_or_b32 v2, 0xffff0000, v3, v5
	s_branch .LBB27_6
.LBB27_11:
	s_endpgm
	.section	.rodata,"a",@progbits
	.p2align	6, 0x0
	.amdhsa_kernel _ZN2at6native12_GLOBAL__N_131replication_pad_backward_kernelIN3c104HalfEEEvN5torch10headeronly6detail27GenericPackedTensorAccessorINS7_14TensorAccessorINS3_8ArrayRefIlEET_Lm2ENS6_16DefaultPtrTraitsElEENS_6detail16IndexBoundsCheckILm3ElEESC_Lm3ESD_lEENS8_INS9_ISB_KSC_Lm2ESD_lEESH_SJ_Lm3ESD_lEEiii
		.amdhsa_group_segment_fixed_size 0
		.amdhsa_private_segment_fixed_size 0
		.amdhsa_kernarg_size 384
		.amdhsa_user_sgpr_count 2
		.amdhsa_user_sgpr_dispatch_ptr 0
		.amdhsa_user_sgpr_queue_ptr 0
		.amdhsa_user_sgpr_kernarg_segment_ptr 1
		.amdhsa_user_sgpr_dispatch_id 0
		.amdhsa_user_sgpr_kernarg_preload_length 0
		.amdhsa_user_sgpr_kernarg_preload_offset 0
		.amdhsa_user_sgpr_private_segment_size 0
		.amdhsa_wavefront_size32 1
		.amdhsa_uses_dynamic_stack 0
		.amdhsa_enable_private_segment 0
		.amdhsa_system_sgpr_workgroup_id_x 1
		.amdhsa_system_sgpr_workgroup_id_y 1
		.amdhsa_system_sgpr_workgroup_id_z 1
		.amdhsa_system_sgpr_workgroup_info 0
		.amdhsa_system_vgpr_workitem_id 0
		.amdhsa_next_free_vgpr 10
		.amdhsa_next_free_sgpr 21
		.amdhsa_named_barrier_count 0
		.amdhsa_reserve_vcc 1
		.amdhsa_float_round_mode_32 0
		.amdhsa_float_round_mode_16_64 0
		.amdhsa_float_denorm_mode_32 3
		.amdhsa_float_denorm_mode_16_64 3
		.amdhsa_fp16_overflow 0
		.amdhsa_memory_ordered 1
		.amdhsa_forward_progress 1
		.amdhsa_inst_pref_size 11
		.amdhsa_round_robin_scheduling 0
		.amdhsa_exception_fp_ieee_invalid_op 0
		.amdhsa_exception_fp_denorm_src 0
		.amdhsa_exception_fp_ieee_div_zero 0
		.amdhsa_exception_fp_ieee_overflow 0
		.amdhsa_exception_fp_ieee_underflow 0
		.amdhsa_exception_fp_ieee_inexact 0
		.amdhsa_exception_int_div_zero 0
	.end_amdhsa_kernel
	.section	.text._ZN2at6native12_GLOBAL__N_131replication_pad_backward_kernelIN3c104HalfEEEvN5torch10headeronly6detail27GenericPackedTensorAccessorINS7_14TensorAccessorINS3_8ArrayRefIlEET_Lm2ENS6_16DefaultPtrTraitsElEENS_6detail16IndexBoundsCheckILm3ElEESC_Lm3ESD_lEENS8_INS9_ISB_KSC_Lm2ESD_lEESH_SJ_Lm3ESD_lEEiii,"axG",@progbits,_ZN2at6native12_GLOBAL__N_131replication_pad_backward_kernelIN3c104HalfEEEvN5torch10headeronly6detail27GenericPackedTensorAccessorINS7_14TensorAccessorINS3_8ArrayRefIlEET_Lm2ENS6_16DefaultPtrTraitsElEENS_6detail16IndexBoundsCheckILm3ElEESC_Lm3ESD_lEENS8_INS9_ISB_KSC_Lm2ESD_lEESH_SJ_Lm3ESD_lEEiii,comdat
.Lfunc_end27:
	.size	_ZN2at6native12_GLOBAL__N_131replication_pad_backward_kernelIN3c104HalfEEEvN5torch10headeronly6detail27GenericPackedTensorAccessorINS7_14TensorAccessorINS3_8ArrayRefIlEET_Lm2ENS6_16DefaultPtrTraitsElEENS_6detail16IndexBoundsCheckILm3ElEESC_Lm3ESD_lEENS8_INS9_ISB_KSC_Lm2ESD_lEESH_SJ_Lm3ESD_lEEiii, .Lfunc_end27-_ZN2at6native12_GLOBAL__N_131replication_pad_backward_kernelIN3c104HalfEEEvN5torch10headeronly6detail27GenericPackedTensorAccessorINS7_14TensorAccessorINS3_8ArrayRefIlEET_Lm2ENS6_16DefaultPtrTraitsElEENS_6detail16IndexBoundsCheckILm3ElEESC_Lm3ESD_lEENS8_INS9_ISB_KSC_Lm2ESD_lEESH_SJ_Lm3ESD_lEEiii
                                        ; -- End function
	.set _ZN2at6native12_GLOBAL__N_131replication_pad_backward_kernelIN3c104HalfEEEvN5torch10headeronly6detail27GenericPackedTensorAccessorINS7_14TensorAccessorINS3_8ArrayRefIlEET_Lm2ENS6_16DefaultPtrTraitsElEENS_6detail16IndexBoundsCheckILm3ElEESC_Lm3ESD_lEENS8_INS9_ISB_KSC_Lm2ESD_lEESH_SJ_Lm3ESD_lEEiii.num_vgpr, 10
	.set _ZN2at6native12_GLOBAL__N_131replication_pad_backward_kernelIN3c104HalfEEEvN5torch10headeronly6detail27GenericPackedTensorAccessorINS7_14TensorAccessorINS3_8ArrayRefIlEET_Lm2ENS6_16DefaultPtrTraitsElEENS_6detail16IndexBoundsCheckILm3ElEESC_Lm3ESD_lEENS8_INS9_ISB_KSC_Lm2ESD_lEESH_SJ_Lm3ESD_lEEiii.num_agpr, 0
	.set _ZN2at6native12_GLOBAL__N_131replication_pad_backward_kernelIN3c104HalfEEEvN5torch10headeronly6detail27GenericPackedTensorAccessorINS7_14TensorAccessorINS3_8ArrayRefIlEET_Lm2ENS6_16DefaultPtrTraitsElEENS_6detail16IndexBoundsCheckILm3ElEESC_Lm3ESD_lEENS8_INS9_ISB_KSC_Lm2ESD_lEESH_SJ_Lm3ESD_lEEiii.numbered_sgpr, 21
	.set _ZN2at6native12_GLOBAL__N_131replication_pad_backward_kernelIN3c104HalfEEEvN5torch10headeronly6detail27GenericPackedTensorAccessorINS7_14TensorAccessorINS3_8ArrayRefIlEET_Lm2ENS6_16DefaultPtrTraitsElEENS_6detail16IndexBoundsCheckILm3ElEESC_Lm3ESD_lEENS8_INS9_ISB_KSC_Lm2ESD_lEESH_SJ_Lm3ESD_lEEiii.num_named_barrier, 0
	.set _ZN2at6native12_GLOBAL__N_131replication_pad_backward_kernelIN3c104HalfEEEvN5torch10headeronly6detail27GenericPackedTensorAccessorINS7_14TensorAccessorINS3_8ArrayRefIlEET_Lm2ENS6_16DefaultPtrTraitsElEENS_6detail16IndexBoundsCheckILm3ElEESC_Lm3ESD_lEENS8_INS9_ISB_KSC_Lm2ESD_lEESH_SJ_Lm3ESD_lEEiii.private_seg_size, 0
	.set _ZN2at6native12_GLOBAL__N_131replication_pad_backward_kernelIN3c104HalfEEEvN5torch10headeronly6detail27GenericPackedTensorAccessorINS7_14TensorAccessorINS3_8ArrayRefIlEET_Lm2ENS6_16DefaultPtrTraitsElEENS_6detail16IndexBoundsCheckILm3ElEESC_Lm3ESD_lEENS8_INS9_ISB_KSC_Lm2ESD_lEESH_SJ_Lm3ESD_lEEiii.uses_vcc, 1
	.set _ZN2at6native12_GLOBAL__N_131replication_pad_backward_kernelIN3c104HalfEEEvN5torch10headeronly6detail27GenericPackedTensorAccessorINS7_14TensorAccessorINS3_8ArrayRefIlEET_Lm2ENS6_16DefaultPtrTraitsElEENS_6detail16IndexBoundsCheckILm3ElEESC_Lm3ESD_lEENS8_INS9_ISB_KSC_Lm2ESD_lEESH_SJ_Lm3ESD_lEEiii.uses_flat_scratch, 0
	.set _ZN2at6native12_GLOBAL__N_131replication_pad_backward_kernelIN3c104HalfEEEvN5torch10headeronly6detail27GenericPackedTensorAccessorINS7_14TensorAccessorINS3_8ArrayRefIlEET_Lm2ENS6_16DefaultPtrTraitsElEENS_6detail16IndexBoundsCheckILm3ElEESC_Lm3ESD_lEENS8_INS9_ISB_KSC_Lm2ESD_lEESH_SJ_Lm3ESD_lEEiii.has_dyn_sized_stack, 0
	.set _ZN2at6native12_GLOBAL__N_131replication_pad_backward_kernelIN3c104HalfEEEvN5torch10headeronly6detail27GenericPackedTensorAccessorINS7_14TensorAccessorINS3_8ArrayRefIlEET_Lm2ENS6_16DefaultPtrTraitsElEENS_6detail16IndexBoundsCheckILm3ElEESC_Lm3ESD_lEENS8_INS9_ISB_KSC_Lm2ESD_lEESH_SJ_Lm3ESD_lEEiii.has_recursion, 0
	.set _ZN2at6native12_GLOBAL__N_131replication_pad_backward_kernelIN3c104HalfEEEvN5torch10headeronly6detail27GenericPackedTensorAccessorINS7_14TensorAccessorINS3_8ArrayRefIlEET_Lm2ENS6_16DefaultPtrTraitsElEENS_6detail16IndexBoundsCheckILm3ElEESC_Lm3ESD_lEENS8_INS9_ISB_KSC_Lm2ESD_lEESH_SJ_Lm3ESD_lEEiii.has_indirect_call, 0
	.section	.AMDGPU.csdata,"",@progbits
; Kernel info:
; codeLenInByte = 1300
; TotalNumSgprs: 23
; NumVgprs: 10
; ScratchSize: 0
; MemoryBound: 0
; FloatMode: 240
; IeeeMode: 1
; LDSByteSize: 0 bytes/workgroup (compile time only)
; SGPRBlocks: 0
; VGPRBlocks: 0
; NumSGPRsForWavesPerEU: 23
; NumVGPRsForWavesPerEU: 10
; NamedBarCnt: 0
; Occupancy: 16
; WaveLimiterHint : 1
; COMPUTE_PGM_RSRC2:SCRATCH_EN: 0
; COMPUTE_PGM_RSRC2:USER_SGPR: 2
; COMPUTE_PGM_RSRC2:TRAP_HANDLER: 0
; COMPUTE_PGM_RSRC2:TGID_X_EN: 1
; COMPUTE_PGM_RSRC2:TGID_Y_EN: 1
; COMPUTE_PGM_RSRC2:TGID_Z_EN: 1
; COMPUTE_PGM_RSRC2:TIDIG_COMP_CNT: 0
	.section	.text._ZN2at6native12_GLOBAL__N_131replication_pad_backward_kernelIN3c108BFloat16EEEvN5torch10headeronly6detail27GenericPackedTensorAccessorINS7_14TensorAccessorINS3_8ArrayRefIlEET_Lm2ENS6_16DefaultPtrTraitsElEENS_6detail16IndexBoundsCheckILm3ElEESC_Lm3ESD_lEENS8_INS9_ISB_KSC_Lm2ESD_lEESH_SJ_Lm3ESD_lEEiii,"axG",@progbits,_ZN2at6native12_GLOBAL__N_131replication_pad_backward_kernelIN3c108BFloat16EEEvN5torch10headeronly6detail27GenericPackedTensorAccessorINS7_14TensorAccessorINS3_8ArrayRefIlEET_Lm2ENS6_16DefaultPtrTraitsElEENS_6detail16IndexBoundsCheckILm3ElEESC_Lm3ESD_lEENS8_INS9_ISB_KSC_Lm2ESD_lEESH_SJ_Lm3ESD_lEEiii,comdat
	.globl	_ZN2at6native12_GLOBAL__N_131replication_pad_backward_kernelIN3c108BFloat16EEEvN5torch10headeronly6detail27GenericPackedTensorAccessorINS7_14TensorAccessorINS3_8ArrayRefIlEET_Lm2ENS6_16DefaultPtrTraitsElEENS_6detail16IndexBoundsCheckILm3ElEESC_Lm3ESD_lEENS8_INS9_ISB_KSC_Lm2ESD_lEESH_SJ_Lm3ESD_lEEiii ; -- Begin function _ZN2at6native12_GLOBAL__N_131replication_pad_backward_kernelIN3c108BFloat16EEEvN5torch10headeronly6detail27GenericPackedTensorAccessorINS7_14TensorAccessorINS3_8ArrayRefIlEET_Lm2ENS6_16DefaultPtrTraitsElEENS_6detail16IndexBoundsCheckILm3ElEESC_Lm3ESD_lEENS8_INS9_ISB_KSC_Lm2ESD_lEESH_SJ_Lm3ESD_lEEiii
	.p2align	8
	.type	_ZN2at6native12_GLOBAL__N_131replication_pad_backward_kernelIN3c108BFloat16EEEvN5torch10headeronly6detail27GenericPackedTensorAccessorINS7_14TensorAccessorINS3_8ArrayRefIlEET_Lm2ENS6_16DefaultPtrTraitsElEENS_6detail16IndexBoundsCheckILm3ElEESC_Lm3ESD_lEENS8_INS9_ISB_KSC_Lm2ESD_lEESH_SJ_Lm3ESD_lEEiii,@function
_ZN2at6native12_GLOBAL__N_131replication_pad_backward_kernelIN3c108BFloat16EEEvN5torch10headeronly6detail27GenericPackedTensorAccessorINS7_14TensorAccessorINS3_8ArrayRefIlEET_Lm2ENS6_16DefaultPtrTraitsElEENS_6detail16IndexBoundsCheckILm3ElEESC_Lm3ESD_lEENS8_INS9_ISB_KSC_Lm2ESD_lEESH_SJ_Lm3ESD_lEEiii: ; @_ZN2at6native12_GLOBAL__N_131replication_pad_backward_kernelIN3c108BFloat16EEEvN5torch10headeronly6detail27GenericPackedTensorAccessorINS7_14TensorAccessorINS3_8ArrayRefIlEET_Lm2ENS6_16DefaultPtrTraitsElEENS_6detail16IndexBoundsCheckILm3ElEESC_Lm3ESD_lEENS8_INS9_ISB_KSC_Lm2ESD_lEESH_SJ_Lm3ESD_lEEiii
; %bb.0:
	s_clause 0x1
	s_load_b32 s2, s[0:1], 0x8c
	s_load_b64 s[4:5], s[0:1], 0x50
	s_bfe_u32 s3, ttmp6, 0x4000c
	v_mov_b32_e32 v2, 0
	s_add_co_i32 s7, s3, 1
	s_and_b32 s6, ttmp6, 15
	s_mul_i32 s7, ttmp9, s7
	s_getreg_b32 s3, hwreg(HW_REG_IB_STS2, 6, 4)
	v_mov_b32_e32 v1, v2
	s_add_co_i32 s6, s6, s7
	s_wait_kmcnt 0x0
	s_and_b32 s2, s2, 0xffff
	s_cmp_eq_u32 s3, 0
	s_cselect_b32 s6, ttmp9, s6
	s_delay_alu instid0(SALU_CYCLE_1) | instskip(SKIP_1) | instid1(VALU_DEP_1)
	v_mad_nc_u64_u32 v[0:1], s2, s6, v[0:1]
	s_mov_b32 s2, exec_lo
	v_cmpx_gt_i64_e64 s[4:5], v[0:1]
	s_cbranch_execz .LBB28_7
; %bb.1:
	v_or_b32_e32 v3, s5, v1
	s_delay_alu instid0(VALU_DEP_1) | instskip(SKIP_1) | instid1(SALU_CYCLE_1)
	v_cmp_ne_u64_e32 vcc_lo, 0, v[2:3]
                                        ; implicit-def: $vgpr2_vgpr3
	s_and_saveexec_b32 s2, vcc_lo
	s_xor_b32 s6, exec_lo, s2
	s_cbranch_execz .LBB28_3
; %bb.2:
	s_cvt_f32_u32 s2, s4
	s_cvt_f32_u32 s7, s5
	s_sub_nc_u64 s[10:11], 0, s[4:5]
	s_mov_b32 s15, 0
	v_dual_mov_b32 v3, 0 :: v_dual_mov_b32 v2, v0
	s_fmamk_f32 s2, s7, 0x4f800000, s2
	s_delay_alu instid0(SALU_CYCLE_3) | instskip(NEXT) | instid1(TRANS32_DEP_1)
	v_s_rcp_f32 s2, s2
	s_mul_f32 s2, s2, 0x5f7ffffc
	s_delay_alu instid0(SALU_CYCLE_3) | instskip(NEXT) | instid1(SALU_CYCLE_3)
	s_mul_f32 s7, s2, 0x2f800000
	s_trunc_f32 s7, s7
	s_delay_alu instid0(SALU_CYCLE_3) | instskip(SKIP_1) | instid1(SALU_CYCLE_2)
	s_fmamk_f32 s2, s7, 0xcf800000, s2
	s_cvt_u32_f32 s9, s7
	s_cvt_u32_f32 s8, s2
	s_delay_alu instid0(SALU_CYCLE_3) | instskip(NEXT) | instid1(SALU_CYCLE_1)
	s_mul_u64 s[12:13], s[10:11], s[8:9]
	s_mul_hi_u32 s17, s8, s13
	s_mul_i32 s16, s8, s13
	s_mul_hi_u32 s14, s8, s12
	s_mul_i32 s7, s9, s12
	s_add_nc_u64 s[16:17], s[14:15], s[16:17]
	s_mul_hi_u32 s2, s9, s12
	s_mul_hi_u32 s18, s9, s13
	s_add_co_u32 s7, s16, s7
	s_add_co_ci_u32 s14, s17, s2
	s_mul_i32 s12, s9, s13
	s_add_co_ci_u32 s13, s18, 0
	s_delay_alu instid0(SALU_CYCLE_1) | instskip(NEXT) | instid1(SALU_CYCLE_1)
	s_add_nc_u64 s[12:13], s[14:15], s[12:13]
	s_add_co_u32 s8, s8, s12
	s_cselect_b32 s2, -1, 0
	s_delay_alu instid0(SALU_CYCLE_1) | instskip(SKIP_1) | instid1(SALU_CYCLE_1)
	s_cmp_lg_u32 s2, 0
	s_add_co_ci_u32 s9, s9, s13
	s_mul_u64 s[10:11], s[10:11], s[8:9]
	s_delay_alu instid0(SALU_CYCLE_1)
	s_mul_hi_u32 s13, s8, s11
	s_mul_i32 s12, s8, s11
	s_mul_hi_u32 s14, s8, s10
	s_mul_i32 s7, s9, s10
	s_add_nc_u64 s[12:13], s[14:15], s[12:13]
	s_mul_hi_u32 s2, s9, s10
	s_mul_hi_u32 s16, s9, s11
	s_add_co_u32 s7, s12, s7
	s_add_co_ci_u32 s14, s13, s2
	s_mul_i32 s10, s9, s11
	s_add_co_ci_u32 s11, s16, 0
	s_delay_alu instid0(SALU_CYCLE_1) | instskip(NEXT) | instid1(SALU_CYCLE_1)
	s_add_nc_u64 s[10:11], s[14:15], s[10:11]
	s_add_co_u32 s2, s8, s10
	s_cselect_b32 s7, -1, 0
	s_delay_alu instid0(SALU_CYCLE_1)
	s_cmp_lg_u32 s7, 0
	s_add_co_ci_u32 s14, s9, s11
	s_mov_b64 s[8:9], 0xffffffff
	v_mul_u64_e32 v[4:5], s[14:15], v[2:3]
	v_mul_hi_u32 v2, v0, s2
	s_and_b64 s[8:9], s[2:3], s[8:9]
	s_delay_alu instid0(VALU_DEP_1) | instskip(SKIP_1) | instid1(VALU_DEP_1)
	v_add_nc_u64_e32 v[4:5], v[2:3], v[4:5]
	v_mov_b32_e32 v2, v1
	v_mul_u64_e32 v[6:7], s[8:9], v[2:3]
	v_mul_u64_e32 v[8:9], s[14:15], v[2:3]
	s_delay_alu instid0(VALU_DEP_2) | instskip(NEXT) | instid1(VALU_DEP_3)
	v_add_co_u32 v2, vcc_lo, v4, v6
	v_add_co_ci_u32_e32 v2, vcc_lo, v5, v7, vcc_lo
	s_delay_alu instid0(VALU_DEP_3) | instskip(NEXT) | instid1(VALU_DEP_1)
	v_add_co_ci_u32_e32 v9, vcc_lo, 0, v9, vcc_lo
	v_add_nc_u64_e32 v[2:3], v[2:3], v[8:9]
	s_delay_alu instid0(VALU_DEP_1) | instskip(NEXT) | instid1(VALU_DEP_1)
	v_mul_u64_e32 v[2:3], s[4:5], v[2:3]
	v_sub_nc_u32_e32 v4, v1, v3
	s_delay_alu instid0(VALU_DEP_2) | instskip(NEXT) | instid1(VALU_DEP_1)
	v_sub_co_u32 v0, vcc_lo, v0, v2
	v_sub_co_ci_u32_e64 v1, null, v1, v3, vcc_lo
	s_delay_alu instid0(VALU_DEP_3) | instskip(NEXT) | instid1(VALU_DEP_3)
	v_subrev_co_ci_u32_e64 v2, null, s5, v4, vcc_lo
	v_sub_co_u32 v3, vcc_lo, v0, s4
	v_cmp_le_u32_e64 s2, s4, v0
	s_delay_alu instid0(VALU_DEP_3) | instskip(SKIP_1) | instid1(VALU_DEP_3)
	v_subrev_co_ci_u32_e64 v4, null, 0, v2, vcc_lo
	v_subrev_co_ci_u32_e64 v2, null, s5, v2, vcc_lo
	v_cndmask_b32_e64 v5, 0, -1, s2
	v_cmp_le_u32_e64 s2, s4, v3
	v_cmp_le_u32_e32 vcc_lo, s5, v1
	s_delay_alu instid0(VALU_DEP_2) | instskip(SKIP_3) | instid1(VALU_DEP_3)
	v_cndmask_b32_e64 v6, 0, -1, s2
	v_cmp_le_u32_e64 s2, s5, v4
	v_cndmask_b32_e64 v8, 0, -1, vcc_lo
	v_cmp_eq_u32_e32 vcc_lo, s5, v4
	v_cndmask_b32_e64 v7, 0, -1, s2
	v_cmp_eq_u32_e64 s2, s5, v1
	s_delay_alu instid0(VALU_DEP_1) | instskip(SKIP_1) | instid1(VALU_DEP_1)
	v_dual_cndmask_b32 v6, v7, v6, vcc_lo :: v_dual_cndmask_b32 v5, v8, v5, s2
	v_sub_co_u32 v7, vcc_lo, v3, s4
	v_subrev_co_ci_u32_e64 v2, null, 0, v2, vcc_lo
	s_delay_alu instid0(VALU_DEP_3) | instskip(NEXT) | instid1(VALU_DEP_2)
	v_cmp_ne_u32_e32 vcc_lo, 0, v6
	v_dual_cndmask_b32 v2, v4, v2, vcc_lo :: v_dual_cndmask_b32 v4, v3, v7, vcc_lo
	v_cmp_ne_u32_e32 vcc_lo, 0, v5
	s_delay_alu instid0(VALU_DEP_2)
	v_dual_cndmask_b32 v3, v1, v2 :: v_dual_cndmask_b32 v2, v0, v4
                                        ; implicit-def: $vgpr0_vgpr1
.LBB28_3:
	s_and_not1_saveexec_b32 s2, s6
	s_cbranch_execz .LBB28_5
; %bb.4:
	v_cvt_f32_u32_e32 v1, s4
	s_sub_co_i32 s5, 0, s4
	v_mov_b32_e32 v3, 0
	s_delay_alu instid0(VALU_DEP_2) | instskip(SKIP_1) | instid1(TRANS32_DEP_1)
	v_rcp_iflag_f32_e32 v1, v1
	v_nop
	v_mul_f32_e32 v1, 0x4f7ffffe, v1
	s_delay_alu instid0(VALU_DEP_1) | instskip(NEXT) | instid1(VALU_DEP_1)
	v_cvt_u32_f32_e32 v1, v1
	v_mul_lo_u32 v2, s5, v1
	s_delay_alu instid0(VALU_DEP_1) | instskip(NEXT) | instid1(VALU_DEP_1)
	v_mul_hi_u32 v2, v1, v2
	v_add_nc_u32_e32 v1, v1, v2
	s_delay_alu instid0(VALU_DEP_1) | instskip(NEXT) | instid1(VALU_DEP_1)
	v_mul_hi_u32 v1, v0, v1
	v_mul_lo_u32 v1, v1, s4
	s_delay_alu instid0(VALU_DEP_1) | instskip(NEXT) | instid1(VALU_DEP_1)
	v_sub_nc_u32_e32 v0, v0, v1
	v_subrev_nc_u32_e32 v1, s4, v0
	v_cmp_le_u32_e32 vcc_lo, s4, v0
	s_delay_alu instid0(VALU_DEP_2) | instskip(NEXT) | instid1(VALU_DEP_1)
	v_cndmask_b32_e32 v0, v0, v1, vcc_lo
	v_subrev_nc_u32_e32 v1, s4, v0
	v_cmp_le_u32_e32 vcc_lo, s4, v0
	s_delay_alu instid0(VALU_DEP_2)
	v_cndmask_b32_e32 v2, v0, v1, vcc_lo
.LBB28_5:
	s_or_b32 exec_lo, exec_lo, s2
	s_clause 0x1
	s_load_b96 s[12:14], s[0:1], 0x70
	s_load_b256 s[4:11], s[0:1], 0x18
	s_bfe_u32 s2, ttmp6, 0x40014
	s_bfe_u32 s17, ttmp6, 0x40010
	s_wait_kmcnt 0x0
	s_lshr_b32 s5, ttmp7, 16
	s_and_b32 s16, ttmp7, 0xffff
	s_add_co_i32 s2, s2, 1
	s_add_co_i32 s17, s17, 1
	s_bfe_u32 s15, ttmp6, 0x40008
	s_bfe_u32 s18, ttmp6, 0x40004
	s_mul_i32 s2, s5, s2
	s_mul_i32 s17, s16, s17
	s_add_co_i32 s15, s15, s2
	s_add_co_i32 s18, s18, s17
	s_cmp_eq_u32 s3, 0
	s_load_b64 s[2:3], s[0:1], 0x68
	s_cselect_b32 s20, s16, s18
	s_cselect_b32 s15, s5, s15
	v_mov_b32_e32 v5, 0
	s_sub_co_i32 s5, 0, s12
	s_add_co_i32 s4, s12, s4
	s_max_i32 s16, s12, 0
	s_add_co_i32 s4, s4, -1
	s_delay_alu instid0(SALU_CYCLE_1) | instskip(SKIP_1) | instid1(SALU_CYCLE_1)
	v_maxmin_i32 v0, s12, v2, s4
	s_max_i32 s4, s5, 0
	s_sub_co_i32 s4, s4, s16
	s_load_b128 s[16:19], s[0:1], 0x58
	s_delay_alu instid0(VALU_DEP_1) | instskip(SKIP_3) | instid1(VALU_DEP_2)
	v_add_nc_u32_e32 v0, s4, v0
	s_load_b64 s[4:5], s[0:1], 0x0
	s_wait_kmcnt 0x0
	v_mul_u64_e32 v[2:3], s[2:3], v[2:3]
	v_ashrrev_i32_e32 v1, 31, v0
	s_mov_b32 s3, 0
	s_add_co_i32 s2, s14, s15
	s_load_b64 s[0:1], s[0:1], 0x38
	s_mul_u64 s[6:7], s[6:7], s[2:3]
	v_mul_u64_e32 v[0:1], s[10:11], v[0:1]
	s_mov_b32 s11, s3
	s_add_co_i32 s10, s13, s20
	s_lshl_b64 s[6:7], s[6:7], 1
	s_mul_u64 s[8:9], s[8:9], s[10:11]
	s_delay_alu instid0(SALU_CYCLE_1)
	s_lshl_b64 s[8:9], s[8:9], 1
	s_add_nc_u64 s[4:5], s[4:5], s[6:7]
	s_mul_u64 s[6:7], s[18:19], s[10:11]
	s_add_nc_u64 s[4:5], s[4:5], s[8:9]
	s_delay_alu instid0(VALU_DEP_1) | instid1(SALU_CYCLE_1)
	v_lshl_add_u64 v[0:1], v[0:1], 1, s[4:5]
	s_mul_u64 s[4:5], s[16:17], s[2:3]
	s_delay_alu instid0(SALU_CYCLE_1) | instskip(NEXT) | instid1(VALU_DEP_1)
	s_lshl_b64 s[4:5], s[4:5], 1
	v_and_b32_e32 v4, 2, v0
	s_wait_kmcnt 0x0
	s_add_nc_u64 s[0:1], s[0:1], s[4:5]
	s_lshl_b64 s[4:5], s[6:7], 1
	s_delay_alu instid0(SALU_CYCLE_1) | instskip(SKIP_3) | instid1(VALU_DEP_3)
	s_add_nc_u64 s[0:1], s[0:1], s[4:5]
	v_sub_nc_u64_e32 v[6:7], 0, v[4:5]
	v_lshl_add_u64 v[8:9], v[2:3], 1, s[0:1]
	v_cmp_eq_u64_e32 vcc_lo, 0, v[4:5]
	v_add_nc_u64_e32 v[0:1], v[0:1], v[6:7]
	global_load_u16 v2, v[8:9], off
	global_load_b32 v3, v[0:1], off
	s_wait_loadcnt 0x1
	v_lshlrev_b32_e32 v4, 16, v2
.LBB28_6:                               ; =>This Inner Loop Header: Depth=1
	s_wait_loadcnt 0x0
	v_lshrrev_b32_e32 v2, 16, v3
	v_and_b32_e32 v5, 0xffff, v3
	s_delay_alu instid0(VALU_DEP_1) | instskip(NEXT) | instid1(VALU_DEP_1)
	v_cndmask_b32_e32 v2, v2, v5, vcc_lo
	v_lshlrev_b32_e32 v2, 16, v2
	s_delay_alu instid0(VALU_DEP_1) | instskip(NEXT) | instid1(VALU_DEP_1)
	v_add_f32_e32 v2, v4, v2
	v_bfe_u32 v6, v2, 16, 1
	v_cmp_o_f32_e64 s0, v2, v2
	s_delay_alu instid0(VALU_DEP_2) | instskip(NEXT) | instid1(VALU_DEP_1)
	v_add3_u32 v6, v2, v6, 0x7fff
	v_lshrrev_b32_e32 v6, 16, v6
	s_delay_alu instid0(VALU_DEP_1) | instskip(NEXT) | instid1(VALU_DEP_1)
	v_cndmask_b32_e64 v2, 0x7fc0, v6, s0
	v_lshl_or_b32 v5, v2, 16, v5
	v_and_or_b32 v2, 0xffff0000, v3, v2
	s_delay_alu instid0(VALU_DEP_1)
	v_cndmask_b32_e32 v2, v5, v2, vcc_lo
	global_atomic_cmpswap_b32 v2, v[0:1], v[2:3], off th:TH_ATOMIC_RETURN scope:SCOPE_DEV
	s_wait_loadcnt 0x0
	v_cmp_eq_u32_e64 s0, v3, v2
	v_mov_b32_e32 v3, v2
	s_or_b32 s3, s0, s3
	s_delay_alu instid0(SALU_CYCLE_1)
	s_and_not1_b32 exec_lo, exec_lo, s3
	s_cbranch_execnz .LBB28_6
.LBB28_7:
	s_endpgm
	.section	.rodata,"a",@progbits
	.p2align	6, 0x0
	.amdhsa_kernel _ZN2at6native12_GLOBAL__N_131replication_pad_backward_kernelIN3c108BFloat16EEEvN5torch10headeronly6detail27GenericPackedTensorAccessorINS7_14TensorAccessorINS3_8ArrayRefIlEET_Lm2ENS6_16DefaultPtrTraitsElEENS_6detail16IndexBoundsCheckILm3ElEESC_Lm3ESD_lEENS8_INS9_ISB_KSC_Lm2ESD_lEESH_SJ_Lm3ESD_lEEiii
		.amdhsa_group_segment_fixed_size 0
		.amdhsa_private_segment_fixed_size 0
		.amdhsa_kernarg_size 384
		.amdhsa_user_sgpr_count 2
		.amdhsa_user_sgpr_dispatch_ptr 0
		.amdhsa_user_sgpr_queue_ptr 0
		.amdhsa_user_sgpr_kernarg_segment_ptr 1
		.amdhsa_user_sgpr_dispatch_id 0
		.amdhsa_user_sgpr_kernarg_preload_length 0
		.amdhsa_user_sgpr_kernarg_preload_offset 0
		.amdhsa_user_sgpr_private_segment_size 0
		.amdhsa_wavefront_size32 1
		.amdhsa_uses_dynamic_stack 0
		.amdhsa_enable_private_segment 0
		.amdhsa_system_sgpr_workgroup_id_x 1
		.amdhsa_system_sgpr_workgroup_id_y 1
		.amdhsa_system_sgpr_workgroup_id_z 1
		.amdhsa_system_sgpr_workgroup_info 0
		.amdhsa_system_vgpr_workitem_id 0
		.amdhsa_next_free_vgpr 10
		.amdhsa_next_free_sgpr 21
		.amdhsa_named_barrier_count 0
		.amdhsa_reserve_vcc 1
		.amdhsa_float_round_mode_32 0
		.amdhsa_float_round_mode_16_64 0
		.amdhsa_float_denorm_mode_32 3
		.amdhsa_float_denorm_mode_16_64 3
		.amdhsa_fp16_overflow 0
		.amdhsa_memory_ordered 1
		.amdhsa_forward_progress 1
		.amdhsa_inst_pref_size 11
		.amdhsa_round_robin_scheduling 0
		.amdhsa_exception_fp_ieee_invalid_op 0
		.amdhsa_exception_fp_denorm_src 0
		.amdhsa_exception_fp_ieee_div_zero 0
		.amdhsa_exception_fp_ieee_overflow 0
		.amdhsa_exception_fp_ieee_underflow 0
		.amdhsa_exception_fp_ieee_inexact 0
		.amdhsa_exception_int_div_zero 0
	.end_amdhsa_kernel
	.section	.text._ZN2at6native12_GLOBAL__N_131replication_pad_backward_kernelIN3c108BFloat16EEEvN5torch10headeronly6detail27GenericPackedTensorAccessorINS7_14TensorAccessorINS3_8ArrayRefIlEET_Lm2ENS6_16DefaultPtrTraitsElEENS_6detail16IndexBoundsCheckILm3ElEESC_Lm3ESD_lEENS8_INS9_ISB_KSC_Lm2ESD_lEESH_SJ_Lm3ESD_lEEiii,"axG",@progbits,_ZN2at6native12_GLOBAL__N_131replication_pad_backward_kernelIN3c108BFloat16EEEvN5torch10headeronly6detail27GenericPackedTensorAccessorINS7_14TensorAccessorINS3_8ArrayRefIlEET_Lm2ENS6_16DefaultPtrTraitsElEENS_6detail16IndexBoundsCheckILm3ElEESC_Lm3ESD_lEENS8_INS9_ISB_KSC_Lm2ESD_lEESH_SJ_Lm3ESD_lEEiii,comdat
.Lfunc_end28:
	.size	_ZN2at6native12_GLOBAL__N_131replication_pad_backward_kernelIN3c108BFloat16EEEvN5torch10headeronly6detail27GenericPackedTensorAccessorINS7_14TensorAccessorINS3_8ArrayRefIlEET_Lm2ENS6_16DefaultPtrTraitsElEENS_6detail16IndexBoundsCheckILm3ElEESC_Lm3ESD_lEENS8_INS9_ISB_KSC_Lm2ESD_lEESH_SJ_Lm3ESD_lEEiii, .Lfunc_end28-_ZN2at6native12_GLOBAL__N_131replication_pad_backward_kernelIN3c108BFloat16EEEvN5torch10headeronly6detail27GenericPackedTensorAccessorINS7_14TensorAccessorINS3_8ArrayRefIlEET_Lm2ENS6_16DefaultPtrTraitsElEENS_6detail16IndexBoundsCheckILm3ElEESC_Lm3ESD_lEENS8_INS9_ISB_KSC_Lm2ESD_lEESH_SJ_Lm3ESD_lEEiii
                                        ; -- End function
	.set _ZN2at6native12_GLOBAL__N_131replication_pad_backward_kernelIN3c108BFloat16EEEvN5torch10headeronly6detail27GenericPackedTensorAccessorINS7_14TensorAccessorINS3_8ArrayRefIlEET_Lm2ENS6_16DefaultPtrTraitsElEENS_6detail16IndexBoundsCheckILm3ElEESC_Lm3ESD_lEENS8_INS9_ISB_KSC_Lm2ESD_lEESH_SJ_Lm3ESD_lEEiii.num_vgpr, 10
	.set _ZN2at6native12_GLOBAL__N_131replication_pad_backward_kernelIN3c108BFloat16EEEvN5torch10headeronly6detail27GenericPackedTensorAccessorINS7_14TensorAccessorINS3_8ArrayRefIlEET_Lm2ENS6_16DefaultPtrTraitsElEENS_6detail16IndexBoundsCheckILm3ElEESC_Lm3ESD_lEENS8_INS9_ISB_KSC_Lm2ESD_lEESH_SJ_Lm3ESD_lEEiii.num_agpr, 0
	.set _ZN2at6native12_GLOBAL__N_131replication_pad_backward_kernelIN3c108BFloat16EEEvN5torch10headeronly6detail27GenericPackedTensorAccessorINS7_14TensorAccessorINS3_8ArrayRefIlEET_Lm2ENS6_16DefaultPtrTraitsElEENS_6detail16IndexBoundsCheckILm3ElEESC_Lm3ESD_lEENS8_INS9_ISB_KSC_Lm2ESD_lEESH_SJ_Lm3ESD_lEEiii.numbered_sgpr, 21
	.set _ZN2at6native12_GLOBAL__N_131replication_pad_backward_kernelIN3c108BFloat16EEEvN5torch10headeronly6detail27GenericPackedTensorAccessorINS7_14TensorAccessorINS3_8ArrayRefIlEET_Lm2ENS6_16DefaultPtrTraitsElEENS_6detail16IndexBoundsCheckILm3ElEESC_Lm3ESD_lEENS8_INS9_ISB_KSC_Lm2ESD_lEESH_SJ_Lm3ESD_lEEiii.num_named_barrier, 0
	.set _ZN2at6native12_GLOBAL__N_131replication_pad_backward_kernelIN3c108BFloat16EEEvN5torch10headeronly6detail27GenericPackedTensorAccessorINS7_14TensorAccessorINS3_8ArrayRefIlEET_Lm2ENS6_16DefaultPtrTraitsElEENS_6detail16IndexBoundsCheckILm3ElEESC_Lm3ESD_lEENS8_INS9_ISB_KSC_Lm2ESD_lEESH_SJ_Lm3ESD_lEEiii.private_seg_size, 0
	.set _ZN2at6native12_GLOBAL__N_131replication_pad_backward_kernelIN3c108BFloat16EEEvN5torch10headeronly6detail27GenericPackedTensorAccessorINS7_14TensorAccessorINS3_8ArrayRefIlEET_Lm2ENS6_16DefaultPtrTraitsElEENS_6detail16IndexBoundsCheckILm3ElEESC_Lm3ESD_lEENS8_INS9_ISB_KSC_Lm2ESD_lEESH_SJ_Lm3ESD_lEEiii.uses_vcc, 1
	.set _ZN2at6native12_GLOBAL__N_131replication_pad_backward_kernelIN3c108BFloat16EEEvN5torch10headeronly6detail27GenericPackedTensorAccessorINS7_14TensorAccessorINS3_8ArrayRefIlEET_Lm2ENS6_16DefaultPtrTraitsElEENS_6detail16IndexBoundsCheckILm3ElEESC_Lm3ESD_lEENS8_INS9_ISB_KSC_Lm2ESD_lEESH_SJ_Lm3ESD_lEEiii.uses_flat_scratch, 0
	.set _ZN2at6native12_GLOBAL__N_131replication_pad_backward_kernelIN3c108BFloat16EEEvN5torch10headeronly6detail27GenericPackedTensorAccessorINS7_14TensorAccessorINS3_8ArrayRefIlEET_Lm2ENS6_16DefaultPtrTraitsElEENS_6detail16IndexBoundsCheckILm3ElEESC_Lm3ESD_lEENS8_INS9_ISB_KSC_Lm2ESD_lEESH_SJ_Lm3ESD_lEEiii.has_dyn_sized_stack, 0
	.set _ZN2at6native12_GLOBAL__N_131replication_pad_backward_kernelIN3c108BFloat16EEEvN5torch10headeronly6detail27GenericPackedTensorAccessorINS7_14TensorAccessorINS3_8ArrayRefIlEET_Lm2ENS6_16DefaultPtrTraitsElEENS_6detail16IndexBoundsCheckILm3ElEESC_Lm3ESD_lEENS8_INS9_ISB_KSC_Lm2ESD_lEESH_SJ_Lm3ESD_lEEiii.has_recursion, 0
	.set _ZN2at6native12_GLOBAL__N_131replication_pad_backward_kernelIN3c108BFloat16EEEvN5torch10headeronly6detail27GenericPackedTensorAccessorINS7_14TensorAccessorINS3_8ArrayRefIlEET_Lm2ENS6_16DefaultPtrTraitsElEENS_6detail16IndexBoundsCheckILm3ElEESC_Lm3ESD_lEENS8_INS9_ISB_KSC_Lm2ESD_lEESH_SJ_Lm3ESD_lEEiii.has_indirect_call, 0
	.section	.AMDGPU.csdata,"",@progbits
; Kernel info:
; codeLenInByte = 1312
; TotalNumSgprs: 23
; NumVgprs: 10
; ScratchSize: 0
; MemoryBound: 0
; FloatMode: 240
; IeeeMode: 1
; LDSByteSize: 0 bytes/workgroup (compile time only)
; SGPRBlocks: 0
; VGPRBlocks: 0
; NumSGPRsForWavesPerEU: 23
; NumVGPRsForWavesPerEU: 10
; NamedBarCnt: 0
; Occupancy: 16
; WaveLimiterHint : 1
; COMPUTE_PGM_RSRC2:SCRATCH_EN: 0
; COMPUTE_PGM_RSRC2:USER_SGPR: 2
; COMPUTE_PGM_RSRC2:TRAP_HANDLER: 0
; COMPUTE_PGM_RSRC2:TGID_X_EN: 1
; COMPUTE_PGM_RSRC2:TGID_Y_EN: 1
; COMPUTE_PGM_RSRC2:TGID_Z_EN: 1
; COMPUTE_PGM_RSRC2:TIDIG_COMP_CNT: 0
	.section	.text._ZN2at6native12_GLOBAL__N_132replication_pad_forward_kernel2dIhEEvN5torch10headeronly6detail27GenericPackedTensorAccessorINS5_14TensorAccessorIN3c108ArrayRefIlEEKT_Lm3ENS4_16DefaultPtrTraitsElEENS_6detail16IndexBoundsCheckILm4ElEESC_Lm4ESD_lEENS6_INS7_ISA_SB_Lm3ESD_lEESH_SB_Lm4ESD_lEEiiii,"axG",@progbits,_ZN2at6native12_GLOBAL__N_132replication_pad_forward_kernel2dIhEEvN5torch10headeronly6detail27GenericPackedTensorAccessorINS5_14TensorAccessorIN3c108ArrayRefIlEEKT_Lm3ENS4_16DefaultPtrTraitsElEENS_6detail16IndexBoundsCheckILm4ElEESC_Lm4ESD_lEENS6_INS7_ISA_SB_Lm3ESD_lEESH_SB_Lm4ESD_lEEiiii,comdat
	.globl	_ZN2at6native12_GLOBAL__N_132replication_pad_forward_kernel2dIhEEvN5torch10headeronly6detail27GenericPackedTensorAccessorINS5_14TensorAccessorIN3c108ArrayRefIlEEKT_Lm3ENS4_16DefaultPtrTraitsElEENS_6detail16IndexBoundsCheckILm4ElEESC_Lm4ESD_lEENS6_INS7_ISA_SB_Lm3ESD_lEESH_SB_Lm4ESD_lEEiiii ; -- Begin function _ZN2at6native12_GLOBAL__N_132replication_pad_forward_kernel2dIhEEvN5torch10headeronly6detail27GenericPackedTensorAccessorINS5_14TensorAccessorIN3c108ArrayRefIlEEKT_Lm3ENS4_16DefaultPtrTraitsElEENS_6detail16IndexBoundsCheckILm4ElEESC_Lm4ESD_lEENS6_INS7_ISA_SB_Lm3ESD_lEESH_SB_Lm4ESD_lEEiiii
	.p2align	8
	.type	_ZN2at6native12_GLOBAL__N_132replication_pad_forward_kernel2dIhEEvN5torch10headeronly6detail27GenericPackedTensorAccessorINS5_14TensorAccessorIN3c108ArrayRefIlEEKT_Lm3ENS4_16DefaultPtrTraitsElEENS_6detail16IndexBoundsCheckILm4ElEESC_Lm4ESD_lEENS6_INS7_ISA_SB_Lm3ESD_lEESH_SB_Lm4ESD_lEEiiii,@function
_ZN2at6native12_GLOBAL__N_132replication_pad_forward_kernel2dIhEEvN5torch10headeronly6detail27GenericPackedTensorAccessorINS5_14TensorAccessorIN3c108ArrayRefIlEEKT_Lm3ENS4_16DefaultPtrTraitsElEENS_6detail16IndexBoundsCheckILm4ElEESC_Lm4ESD_lEENS6_INS7_ISA_SB_Lm3ESD_lEESH_SB_Lm4ESD_lEEiiii: ; @_ZN2at6native12_GLOBAL__N_132replication_pad_forward_kernel2dIhEEvN5torch10headeronly6detail27GenericPackedTensorAccessorINS5_14TensorAccessorIN3c108ArrayRefIlEEKT_Lm3ENS4_16DefaultPtrTraitsElEENS_6detail16IndexBoundsCheckILm4ElEESC_Lm4ESD_lEENS6_INS7_ISA_SB_Lm3ESD_lEESH_SB_Lm4ESD_lEEiiii
; %bb.0:
	s_clause 0x1
	s_load_b32 s2, s[0:1], 0xac
	s_load_b128 s[12:15], s[0:1], 0x60
	s_bfe_u32 s5, ttmp6, 0x4000c
	s_and_b32 s4, ttmp6, 15
	s_add_co_i32 s5, s5, 1
	s_getreg_b32 s3, hwreg(HW_REG_IB_STS2, 6, 4)
	s_mul_i32 s5, ttmp9, s5
	s_delay_alu instid0(SALU_CYCLE_1) | instskip(SKIP_4) | instid1(SALU_CYCLE_1)
	s_add_co_i32 s4, s4, s5
	s_wait_kmcnt 0x0
	s_and_b32 s2, s2, 0xffff
	s_cmp_eq_u32 s3, 0
	s_cselect_b32 s4, ttmp9, s4
	v_mad_u32 v0, s4, s2, v0
	s_mul_u64 s[4:5], s[14:15], s[12:13]
	s_mov_b32 s2, exec_lo
	s_delay_alu instid0(VALU_DEP_1) | instskip(NEXT) | instid1(VALU_DEP_1)
	v_ashrrev_i32_e32 v1, 31, v0
	v_cmpx_gt_i64_e64 s[4:5], v[0:1]
	s_cbranch_execz .LBB29_6
; %bb.1:
	v_dual_mov_b32 v2, 0 :: v_dual_bitop2_b32 v3, s15, v1 bitop3:0x54
                                        ; implicit-def: $vgpr4_vgpr5
	s_mov_b32 s2, exec_lo
	s_delay_alu instid0(VALU_DEP_1)
	v_cmpx_ne_u64_e32 0, v[2:3]
	s_xor_b32 s8, exec_lo, s2
	s_cbranch_execz .LBB29_3
; %bb.2:
	s_ashr_i32 s4, s15, 31
	s_mov_b32 s19, 0
	s_mov_b32 s5, s4
	v_dual_mov_b32 v9, v2 :: v_dual_ashrrev_i32 v4, 31, v1
	s_add_nc_u64 s[6:7], s[14:15], s[4:5]
	v_dual_mov_b32 v17, v2 :: v_dual_mov_b32 v3, v2
	s_xor_b64 s[6:7], s[6:7], s[4:5]
	s_delay_alu instid0(VALU_DEP_2) | instskip(SKIP_3) | instid1(VALU_DEP_1)
	v_mov_b32_e32 v5, v4
	s_cvt_f32_u32 s2, s6
	s_cvt_f32_u32 s5, s7
	s_sub_nc_u64 s[12:13], 0, s[6:7]
	v_add_nc_u64_e32 v[6:7], v[0:1], v[4:5]
	s_delay_alu instid0(SALU_CYCLE_1) | instskip(SKIP_1) | instid1(SALU_CYCLE_2)
	s_fmamk_f32 s2, s5, 0x4f800000, s2
	v_mov_b32_e32 v11, v2
	v_s_rcp_f32 s2, s2
	s_delay_alu instid0(VALU_DEP_2) | instskip(NEXT) | instid1(VALU_DEP_3)
	v_xor_b32_e32 v8, v6, v4
	v_xor_b32_e32 v10, v7, v4
	;; [unrolled: 1-line block ×3, first 2 shown]
	s_delay_alu instid0(TRANS32_DEP_1) | instskip(NEXT) | instid1(SALU_CYCLE_3)
	s_mul_f32 s2, s2, 0x5f7ffffc
	s_mul_f32 s5, s2, 0x2f800000
	s_delay_alu instid0(SALU_CYCLE_3) | instskip(NEXT) | instid1(SALU_CYCLE_3)
	s_trunc_f32 s5, s5
	s_fmamk_f32 s2, s5, 0xcf800000, s2
	s_cvt_u32_f32 s11, s5
	s_delay_alu instid0(SALU_CYCLE_2) | instskip(NEXT) | instid1(SALU_CYCLE_3)
	s_cvt_u32_f32 s10, s2
	s_mul_u64 s[16:17], s[12:13], s[10:11]
	s_delay_alu instid0(SALU_CYCLE_1)
	s_mul_hi_u32 s21, s10, s17
	s_mul_i32 s20, s10, s17
	s_mul_hi_u32 s18, s10, s16
	s_mul_i32 s5, s11, s16
	s_add_nc_u64 s[20:21], s[18:19], s[20:21]
	s_mul_hi_u32 s2, s11, s16
	s_mul_hi_u32 s9, s11, s17
	s_add_co_u32 s5, s20, s5
	s_add_co_ci_u32 s18, s21, s2
	s_mul_i32 s16, s11, s17
	s_add_co_ci_u32 s17, s9, 0
	s_delay_alu instid0(SALU_CYCLE_1) | instskip(NEXT) | instid1(SALU_CYCLE_1)
	s_add_nc_u64 s[16:17], s[18:19], s[16:17]
	s_add_co_u32 s10, s10, s16
	s_cselect_b32 s2, -1, 0
	s_delay_alu instid0(SALU_CYCLE_1) | instskip(SKIP_1) | instid1(SALU_CYCLE_1)
	s_cmp_lg_u32 s2, 0
	s_add_co_ci_u32 s11, s11, s17
	s_mul_u64 s[12:13], s[12:13], s[10:11]
	s_delay_alu instid0(SALU_CYCLE_1)
	s_mul_hi_u32 s17, s10, s13
	s_mul_i32 s16, s10, s13
	s_mul_hi_u32 s18, s10, s12
	s_mul_i32 s5, s11, s12
	s_add_nc_u64 s[16:17], s[18:19], s[16:17]
	s_mul_hi_u32 s2, s11, s12
	s_mul_hi_u32 s9, s11, s13
	s_add_co_u32 s5, s16, s5
	s_add_co_ci_u32 s18, s17, s2
	s_mul_i32 s12, s11, s13
	s_add_co_ci_u32 s13, s9, 0
	s_delay_alu instid0(SALU_CYCLE_1) | instskip(NEXT) | instid1(SALU_CYCLE_1)
	s_add_nc_u64 s[12:13], s[18:19], s[12:13]
	s_add_co_u32 s2, s10, s12
	s_cselect_b32 s5, -1, 0
	v_mul_hi_u32 v16, v8, s2
	s_cmp_lg_u32 s5, 0
	s_add_co_ci_u32 s18, s11, s13
	s_mov_b64 s[10:11], 0xffffffff
	v_mul_u64_e32 v[12:13], s[18:19], v[8:9]
	s_and_b64 s[10:11], s[2:3], s[10:11]
	v_mul_u64_e32 v[14:15], s[18:19], v[10:11]
	v_mul_u64_e32 v[6:7], s[10:11], v[10:11]
	s_delay_alu instid0(VALU_DEP_3) | instskip(NEXT) | instid1(VALU_DEP_1)
	v_add_nc_u64_e32 v[12:13], v[16:17], v[12:13]
	v_add_co_u32 v2, vcc_lo, v12, v6
	s_delay_alu instid0(VALU_DEP_2) | instskip(SKIP_1) | instid1(VALU_DEP_1)
	v_add_co_ci_u32_e32 v2, vcc_lo, v13, v7, vcc_lo
	v_add_co_ci_u32_e32 v15, vcc_lo, 0, v15, vcc_lo
	v_add_nc_u64_e32 v[2:3], v[2:3], v[14:15]
	s_delay_alu instid0(VALU_DEP_1) | instskip(NEXT) | instid1(VALU_DEP_1)
	v_mul_u64_e32 v[6:7], s[6:7], v[2:3]
	v_sub_nc_u32_e32 v5, v10, v7
	s_delay_alu instid0(VALU_DEP_2) | instskip(NEXT) | instid1(VALU_DEP_1)
	v_sub_co_u32 v6, vcc_lo, v8, v6
	v_sub_co_ci_u32_e64 v10, null, v10, v7, vcc_lo
	s_delay_alu instid0(VALU_DEP_3) | instskip(NEXT) | instid1(VALU_DEP_3)
	v_subrev_co_ci_u32_e64 v5, null, s7, v5, vcc_lo
	v_sub_co_u32 v8, s2, v6, s6
	s_delay_alu instid0(VALU_DEP_1) | instskip(NEXT) | instid1(VALU_DEP_2)
	v_subrev_co_ci_u32_e64 v5, null, 0, v5, s2
	v_cmp_le_u32_e32 vcc_lo, s6, v8
	v_cndmask_b32_e64 v7, 0, -1, vcc_lo
	s_delay_alu instid0(VALU_DEP_3)
	v_cmp_le_u32_e32 vcc_lo, s7, v5
	v_cndmask_b32_e64 v8, 0, -1, vcc_lo
	v_cmp_le_u32_e32 vcc_lo, s6, v6
	v_cndmask_b32_e64 v11, 0, -1, vcc_lo
	;; [unrolled: 2-line block ×3, first 2 shown]
	v_cmp_eq_u32_e32 vcc_lo, s7, v5
	v_cndmask_b32_e32 v5, v8, v7, vcc_lo
	v_cmp_eq_u32_e32 vcc_lo, s7, v10
	v_add_nc_u64_e32 v[6:7], 2, v[2:3]
	v_add_nc_u64_e32 v[8:9], 1, v[2:3]
	v_cndmask_b32_e32 v10, v12, v11, vcc_lo
	v_cmp_ne_u32_e32 vcc_lo, 0, v5
	s_delay_alu instid0(VALU_DEP_2) | instskip(NEXT) | instid1(VALU_DEP_4)
	v_cmp_ne_u32_e64 s2, 0, v10
	v_dual_cndmask_b32 v6, v8, v6 :: v_dual_cndmask_b32 v5, v9, v7
	s_delay_alu instid0(VALU_DEP_1) | instskip(NEXT) | instid1(VALU_DEP_1)
	v_dual_cndmask_b32 v2, v2, v6, s2 :: v_dual_cndmask_b32 v3, v3, v5, s2
	v_dual_mov_b32 v5, v4 :: v_dual_bitop2_b32 v2, v2, v4 bitop3:0x14
	s_delay_alu instid0(VALU_DEP_2) | instskip(NEXT) | instid1(VALU_DEP_1)
	v_xor_b32_e32 v3, v3, v4
	v_sub_nc_u64_e32 v[4:5], v[2:3], v[4:5]
.LBB29_3:
	s_and_not1_saveexec_b32 s2, s8
	s_cbranch_execz .LBB29_5
; %bb.4:
	v_cvt_f32_u32_e32 v2, s14
	s_sub_co_i32 s4, 0, s14
	s_delay_alu instid0(VALU_DEP_1) | instskip(SKIP_1) | instid1(TRANS32_DEP_1)
	v_rcp_iflag_f32_e32 v2, v2
	v_nop
	v_mul_f32_e32 v2, 0x4f7ffffe, v2
	s_delay_alu instid0(VALU_DEP_1) | instskip(NEXT) | instid1(VALU_DEP_1)
	v_cvt_u32_f32_e32 v2, v2
	v_mul_lo_u32 v3, s4, v2
	s_delay_alu instid0(VALU_DEP_1) | instskip(NEXT) | instid1(VALU_DEP_1)
	v_mul_hi_u32 v3, v2, v3
	v_add_nc_u32_e32 v2, v2, v3
	s_delay_alu instid0(VALU_DEP_1) | instskip(NEXT) | instid1(VALU_DEP_1)
	v_mul_hi_u32 v2, v0, v2
	v_mul_lo_u32 v3, v2, s14
	s_delay_alu instid0(VALU_DEP_1) | instskip(NEXT) | instid1(VALU_DEP_1)
	v_dual_add_nc_u32 v4, 1, v2 :: v_dual_sub_nc_u32 v3, v0, v3
	v_subrev_nc_u32_e32 v5, s14, v3
	v_cmp_le_u32_e32 vcc_lo, s14, v3
	s_delay_alu instid0(VALU_DEP_2) | instskip(NEXT) | instid1(VALU_DEP_4)
	v_dual_cndmask_b32 v3, v3, v5, vcc_lo :: v_dual_mov_b32 v5, 0
	v_cndmask_b32_e32 v2, v2, v4, vcc_lo
	s_delay_alu instid0(VALU_DEP_2) | instskip(NEXT) | instid1(VALU_DEP_2)
	v_cmp_le_u32_e32 vcc_lo, s14, v3
	v_add_nc_u32_e32 v4, 1, v2
	s_delay_alu instid0(VALU_DEP_1)
	v_cndmask_b32_e32 v4, v2, v4, vcc_lo
.LBB29_5:
	s_or_b32 exec_lo, exec_lo, s2
	s_clause 0x1
	s_load_b128 s[16:19], s[0:1], 0x90
	s_load_b256 s[4:11], s[0:1], 0x18
	s_wait_kmcnt 0x0
	s_bfe_u32 s5, ttmp6, 0x40014
	s_bfe_u32 s12, ttmp6, 0x40010
	s_lshr_b32 s2, ttmp7, 16
	s_and_b32 s22, ttmp7, 0xffff
	s_load_b64 s[20:21], s[0:1], 0x0
	s_add_co_i32 s5, s5, 1
	s_add_co_i32 s12, s12, 1
	s_bfe_u32 s7, ttmp6, 0x40008
	s_bfe_u32 s13, ttmp6, 0x40004
	s_mul_i32 s5, s2, s5
	s_mul_i32 s12, s22, s12
	v_mul_u64_e32 v[2:3], s[14:15], v[4:5]
	s_add_co_i32 s7, s7, s5
	s_add_co_i32 s5, s13, s12
	s_load_b128 s[12:15], s[0:1], 0x38
	s_cmp_eq_u32 s3, 0
	s_cselect_b32 s2, s2, s7
	s_cselect_b32 s3, s22, s5
	s_add_co_i32 s4, s16, s4
	s_sub_co_i32 s5, 0, s16
	s_add_co_i32 s4, s4, -1
	s_add_co_i32 s2, s19, s2
	v_maxmin_i32 v5, s16, v4, s4
	s_max_i32 s5, s5, 0
	s_max_i32 s4, s16, 0
	s_add_co_i32 s18, s18, s3
	s_sub_co_i32 s4, s5, s4
	s_ashr_i32 s3, s2, 31
	v_add_nc_u32_e32 v5, s4, v5
	s_mul_u64 s[4:5], s[8:9], s[2:3]
	s_ashr_i32 s19, s18, 31
	s_wait_kmcnt 0x0
	s_add_nc_u64 s[4:5], s[20:21], s[4:5]
	s_mul_u64 s[8:9], s[10:11], s[18:19]
	s_delay_alu instid0(SALU_CYCLE_1) | instskip(NEXT) | instid1(SALU_CYCLE_1)
	s_add_nc_u64 s[4:5], s[4:5], s[8:9]
	v_mad_nc_u64_u32 v[6:7], s12, v5, s[4:5]
	s_add_co_i32 s5, s17, s6
	s_sub_co_i32 s4, 0, s17
	s_add_co_i32 s5, s5, -1
	s_max_i32 s4, s4, 0
	s_delay_alu instid0(VALU_DEP_4) | instskip(SKIP_1) | instid1(VALU_DEP_3)
	v_sub_nc_u64_e32 v[0:1], v[0:1], v[2:3]
	v_ashrrev_i32_e32 v2, 31, v5
	v_mad_u32 v7, s13, v5, v7
	s_delay_alu instid0(VALU_DEP_1) | instskip(NEXT) | instid1(VALU_DEP_4)
	v_mad_u32 v7, s12, v2, v7
	v_maxmin_i32 v2, s17, v0, s5
	s_max_i32 s5, s17, 0
	s_delay_alu instid0(SALU_CYCLE_1)
	s_sub_co_i32 s4, s4, s5
	s_delay_alu instid0(VALU_DEP_1) | instid1(SALU_CYCLE_1)
	v_add_nc_u32_e32 v5, s4, v2
	s_delay_alu instid0(VALU_DEP_1) | instskip(NEXT) | instid1(VALU_DEP_1)
	v_mad_nc_u64_u32 v[2:3], s14, v5, v[6:7]
	v_mad_u32 v3, s15, v5, v3
	v_ashrrev_i32_e32 v5, 31, v5
	s_delay_alu instid0(VALU_DEP_1)
	v_mad_u32 v3, s14, v5, v3
	global_load_u8 v5, v[2:3], off
	s_clause 0x1
	s_load_b256 s[4:11], s[0:1], 0x70
	s_load_b64 s[12:13], s[0:1], 0x48
	s_wait_kmcnt 0x0
	s_mul_u64 s[0:1], s[4:5], s[2:3]
	s_mul_u64 s[2:3], s[6:7], s[18:19]
	s_add_nc_u64 s[0:1], s[12:13], s[0:1]
	s_delay_alu instid0(SALU_CYCLE_1) | instskip(NEXT) | instid1(SALU_CYCLE_1)
	s_add_nc_u64 s[0:1], s[0:1], s[2:3]
	v_mad_nc_u64_u32 v[2:3], s8, v4, s[0:1]
	s_delay_alu instid0(VALU_DEP_1) | instskip(SKIP_1) | instid1(VALU_DEP_1)
	v_mad_u32 v3, s9, v4, v3
	v_ashrrev_i32_e32 v4, 31, v4
	v_mad_u32 v3, s8, v4, v3
	s_delay_alu instid0(VALU_DEP_1) | instskip(NEXT) | instid1(VALU_DEP_1)
	v_mad_nc_u64_u32 v[2:3], s10, v0, v[2:3]
	v_mad_u32 v0, s11, v0, v3
	s_delay_alu instid0(VALU_DEP_1)
	v_mad_u32 v3, s10, v1, v0
	s_wait_loadcnt 0x0
	global_store_b8 v[2:3], v5, off
.LBB29_6:
	s_endpgm
	.section	.rodata,"a",@progbits
	.p2align	6, 0x0
	.amdhsa_kernel _ZN2at6native12_GLOBAL__N_132replication_pad_forward_kernel2dIhEEvN5torch10headeronly6detail27GenericPackedTensorAccessorINS5_14TensorAccessorIN3c108ArrayRefIlEEKT_Lm3ENS4_16DefaultPtrTraitsElEENS_6detail16IndexBoundsCheckILm4ElEESC_Lm4ESD_lEENS6_INS7_ISA_SB_Lm3ESD_lEESH_SB_Lm4ESD_lEEiiii
		.amdhsa_group_segment_fixed_size 0
		.amdhsa_private_segment_fixed_size 0
		.amdhsa_kernarg_size 416
		.amdhsa_user_sgpr_count 2
		.amdhsa_user_sgpr_dispatch_ptr 0
		.amdhsa_user_sgpr_queue_ptr 0
		.amdhsa_user_sgpr_kernarg_segment_ptr 1
		.amdhsa_user_sgpr_dispatch_id 0
		.amdhsa_user_sgpr_kernarg_preload_length 0
		.amdhsa_user_sgpr_kernarg_preload_offset 0
		.amdhsa_user_sgpr_private_segment_size 0
		.amdhsa_wavefront_size32 1
		.amdhsa_uses_dynamic_stack 0
		.amdhsa_enable_private_segment 0
		.amdhsa_system_sgpr_workgroup_id_x 1
		.amdhsa_system_sgpr_workgroup_id_y 1
		.amdhsa_system_sgpr_workgroup_id_z 1
		.amdhsa_system_sgpr_workgroup_info 0
		.amdhsa_system_vgpr_workitem_id 0
		.amdhsa_next_free_vgpr 18
		.amdhsa_next_free_sgpr 23
		.amdhsa_named_barrier_count 0
		.amdhsa_reserve_vcc 1
		.amdhsa_float_round_mode_32 0
		.amdhsa_float_round_mode_16_64 0
		.amdhsa_float_denorm_mode_32 3
		.amdhsa_float_denorm_mode_16_64 3
		.amdhsa_fp16_overflow 0
		.amdhsa_memory_ordered 1
		.amdhsa_forward_progress 1
		.amdhsa_inst_pref_size 11
		.amdhsa_round_robin_scheduling 0
		.amdhsa_exception_fp_ieee_invalid_op 0
		.amdhsa_exception_fp_denorm_src 0
		.amdhsa_exception_fp_ieee_div_zero 0
		.amdhsa_exception_fp_ieee_overflow 0
		.amdhsa_exception_fp_ieee_underflow 0
		.amdhsa_exception_fp_ieee_inexact 0
		.amdhsa_exception_int_div_zero 0
	.end_amdhsa_kernel
	.section	.text._ZN2at6native12_GLOBAL__N_132replication_pad_forward_kernel2dIhEEvN5torch10headeronly6detail27GenericPackedTensorAccessorINS5_14TensorAccessorIN3c108ArrayRefIlEEKT_Lm3ENS4_16DefaultPtrTraitsElEENS_6detail16IndexBoundsCheckILm4ElEESC_Lm4ESD_lEENS6_INS7_ISA_SB_Lm3ESD_lEESH_SB_Lm4ESD_lEEiiii,"axG",@progbits,_ZN2at6native12_GLOBAL__N_132replication_pad_forward_kernel2dIhEEvN5torch10headeronly6detail27GenericPackedTensorAccessorINS5_14TensorAccessorIN3c108ArrayRefIlEEKT_Lm3ENS4_16DefaultPtrTraitsElEENS_6detail16IndexBoundsCheckILm4ElEESC_Lm4ESD_lEENS6_INS7_ISA_SB_Lm3ESD_lEESH_SB_Lm4ESD_lEEiiii,comdat
.Lfunc_end29:
	.size	_ZN2at6native12_GLOBAL__N_132replication_pad_forward_kernel2dIhEEvN5torch10headeronly6detail27GenericPackedTensorAccessorINS5_14TensorAccessorIN3c108ArrayRefIlEEKT_Lm3ENS4_16DefaultPtrTraitsElEENS_6detail16IndexBoundsCheckILm4ElEESC_Lm4ESD_lEENS6_INS7_ISA_SB_Lm3ESD_lEESH_SB_Lm4ESD_lEEiiii, .Lfunc_end29-_ZN2at6native12_GLOBAL__N_132replication_pad_forward_kernel2dIhEEvN5torch10headeronly6detail27GenericPackedTensorAccessorINS5_14TensorAccessorIN3c108ArrayRefIlEEKT_Lm3ENS4_16DefaultPtrTraitsElEENS_6detail16IndexBoundsCheckILm4ElEESC_Lm4ESD_lEENS6_INS7_ISA_SB_Lm3ESD_lEESH_SB_Lm4ESD_lEEiiii
                                        ; -- End function
	.set _ZN2at6native12_GLOBAL__N_132replication_pad_forward_kernel2dIhEEvN5torch10headeronly6detail27GenericPackedTensorAccessorINS5_14TensorAccessorIN3c108ArrayRefIlEEKT_Lm3ENS4_16DefaultPtrTraitsElEENS_6detail16IndexBoundsCheckILm4ElEESC_Lm4ESD_lEENS6_INS7_ISA_SB_Lm3ESD_lEESH_SB_Lm4ESD_lEEiiii.num_vgpr, 18
	.set _ZN2at6native12_GLOBAL__N_132replication_pad_forward_kernel2dIhEEvN5torch10headeronly6detail27GenericPackedTensorAccessorINS5_14TensorAccessorIN3c108ArrayRefIlEEKT_Lm3ENS4_16DefaultPtrTraitsElEENS_6detail16IndexBoundsCheckILm4ElEESC_Lm4ESD_lEENS6_INS7_ISA_SB_Lm3ESD_lEESH_SB_Lm4ESD_lEEiiii.num_agpr, 0
	.set _ZN2at6native12_GLOBAL__N_132replication_pad_forward_kernel2dIhEEvN5torch10headeronly6detail27GenericPackedTensorAccessorINS5_14TensorAccessorIN3c108ArrayRefIlEEKT_Lm3ENS4_16DefaultPtrTraitsElEENS_6detail16IndexBoundsCheckILm4ElEESC_Lm4ESD_lEENS6_INS7_ISA_SB_Lm3ESD_lEESH_SB_Lm4ESD_lEEiiii.numbered_sgpr, 23
	.set _ZN2at6native12_GLOBAL__N_132replication_pad_forward_kernel2dIhEEvN5torch10headeronly6detail27GenericPackedTensorAccessorINS5_14TensorAccessorIN3c108ArrayRefIlEEKT_Lm3ENS4_16DefaultPtrTraitsElEENS_6detail16IndexBoundsCheckILm4ElEESC_Lm4ESD_lEENS6_INS7_ISA_SB_Lm3ESD_lEESH_SB_Lm4ESD_lEEiiii.num_named_barrier, 0
	.set _ZN2at6native12_GLOBAL__N_132replication_pad_forward_kernel2dIhEEvN5torch10headeronly6detail27GenericPackedTensorAccessorINS5_14TensorAccessorIN3c108ArrayRefIlEEKT_Lm3ENS4_16DefaultPtrTraitsElEENS_6detail16IndexBoundsCheckILm4ElEESC_Lm4ESD_lEENS6_INS7_ISA_SB_Lm3ESD_lEESH_SB_Lm4ESD_lEEiiii.private_seg_size, 0
	.set _ZN2at6native12_GLOBAL__N_132replication_pad_forward_kernel2dIhEEvN5torch10headeronly6detail27GenericPackedTensorAccessorINS5_14TensorAccessorIN3c108ArrayRefIlEEKT_Lm3ENS4_16DefaultPtrTraitsElEENS_6detail16IndexBoundsCheckILm4ElEESC_Lm4ESD_lEENS6_INS7_ISA_SB_Lm3ESD_lEESH_SB_Lm4ESD_lEEiiii.uses_vcc, 1
	.set _ZN2at6native12_GLOBAL__N_132replication_pad_forward_kernel2dIhEEvN5torch10headeronly6detail27GenericPackedTensorAccessorINS5_14TensorAccessorIN3c108ArrayRefIlEEKT_Lm3ENS4_16DefaultPtrTraitsElEENS_6detail16IndexBoundsCheckILm4ElEESC_Lm4ESD_lEENS6_INS7_ISA_SB_Lm3ESD_lEESH_SB_Lm4ESD_lEEiiii.uses_flat_scratch, 0
	.set _ZN2at6native12_GLOBAL__N_132replication_pad_forward_kernel2dIhEEvN5torch10headeronly6detail27GenericPackedTensorAccessorINS5_14TensorAccessorIN3c108ArrayRefIlEEKT_Lm3ENS4_16DefaultPtrTraitsElEENS_6detail16IndexBoundsCheckILm4ElEESC_Lm4ESD_lEENS6_INS7_ISA_SB_Lm3ESD_lEESH_SB_Lm4ESD_lEEiiii.has_dyn_sized_stack, 0
	.set _ZN2at6native12_GLOBAL__N_132replication_pad_forward_kernel2dIhEEvN5torch10headeronly6detail27GenericPackedTensorAccessorINS5_14TensorAccessorIN3c108ArrayRefIlEEKT_Lm3ENS4_16DefaultPtrTraitsElEENS_6detail16IndexBoundsCheckILm4ElEESC_Lm4ESD_lEENS6_INS7_ISA_SB_Lm3ESD_lEESH_SB_Lm4ESD_lEEiiii.has_recursion, 0
	.set _ZN2at6native12_GLOBAL__N_132replication_pad_forward_kernel2dIhEEvN5torch10headeronly6detail27GenericPackedTensorAccessorINS5_14TensorAccessorIN3c108ArrayRefIlEEKT_Lm3ENS4_16DefaultPtrTraitsElEENS_6detail16IndexBoundsCheckILm4ElEESC_Lm4ESD_lEENS6_INS7_ISA_SB_Lm3ESD_lEESH_SB_Lm4ESD_lEEiiii.has_indirect_call, 0
	.section	.AMDGPU.csdata,"",@progbits
; Kernel info:
; codeLenInByte = 1332
; TotalNumSgprs: 25
; NumVgprs: 18
; ScratchSize: 0
; MemoryBound: 0
; FloatMode: 240
; IeeeMode: 1
; LDSByteSize: 0 bytes/workgroup (compile time only)
; SGPRBlocks: 0
; VGPRBlocks: 1
; NumSGPRsForWavesPerEU: 25
; NumVGPRsForWavesPerEU: 18
; NamedBarCnt: 0
; Occupancy: 16
; WaveLimiterHint : 1
; COMPUTE_PGM_RSRC2:SCRATCH_EN: 0
; COMPUTE_PGM_RSRC2:USER_SGPR: 2
; COMPUTE_PGM_RSRC2:TRAP_HANDLER: 0
; COMPUTE_PGM_RSRC2:TGID_X_EN: 1
; COMPUTE_PGM_RSRC2:TGID_Y_EN: 1
; COMPUTE_PGM_RSRC2:TGID_Z_EN: 1
; COMPUTE_PGM_RSRC2:TIDIG_COMP_CNT: 0
	.section	.text._ZN2at6native12_GLOBAL__N_132replication_pad_forward_kernel2dIaEEvN5torch10headeronly6detail27GenericPackedTensorAccessorINS5_14TensorAccessorIN3c108ArrayRefIlEEKT_Lm3ENS4_16DefaultPtrTraitsElEENS_6detail16IndexBoundsCheckILm4ElEESC_Lm4ESD_lEENS6_INS7_ISA_SB_Lm3ESD_lEESH_SB_Lm4ESD_lEEiiii,"axG",@progbits,_ZN2at6native12_GLOBAL__N_132replication_pad_forward_kernel2dIaEEvN5torch10headeronly6detail27GenericPackedTensorAccessorINS5_14TensorAccessorIN3c108ArrayRefIlEEKT_Lm3ENS4_16DefaultPtrTraitsElEENS_6detail16IndexBoundsCheckILm4ElEESC_Lm4ESD_lEENS6_INS7_ISA_SB_Lm3ESD_lEESH_SB_Lm4ESD_lEEiiii,comdat
	.globl	_ZN2at6native12_GLOBAL__N_132replication_pad_forward_kernel2dIaEEvN5torch10headeronly6detail27GenericPackedTensorAccessorINS5_14TensorAccessorIN3c108ArrayRefIlEEKT_Lm3ENS4_16DefaultPtrTraitsElEENS_6detail16IndexBoundsCheckILm4ElEESC_Lm4ESD_lEENS6_INS7_ISA_SB_Lm3ESD_lEESH_SB_Lm4ESD_lEEiiii ; -- Begin function _ZN2at6native12_GLOBAL__N_132replication_pad_forward_kernel2dIaEEvN5torch10headeronly6detail27GenericPackedTensorAccessorINS5_14TensorAccessorIN3c108ArrayRefIlEEKT_Lm3ENS4_16DefaultPtrTraitsElEENS_6detail16IndexBoundsCheckILm4ElEESC_Lm4ESD_lEENS6_INS7_ISA_SB_Lm3ESD_lEESH_SB_Lm4ESD_lEEiiii
	.p2align	8
	.type	_ZN2at6native12_GLOBAL__N_132replication_pad_forward_kernel2dIaEEvN5torch10headeronly6detail27GenericPackedTensorAccessorINS5_14TensorAccessorIN3c108ArrayRefIlEEKT_Lm3ENS4_16DefaultPtrTraitsElEENS_6detail16IndexBoundsCheckILm4ElEESC_Lm4ESD_lEENS6_INS7_ISA_SB_Lm3ESD_lEESH_SB_Lm4ESD_lEEiiii,@function
_ZN2at6native12_GLOBAL__N_132replication_pad_forward_kernel2dIaEEvN5torch10headeronly6detail27GenericPackedTensorAccessorINS5_14TensorAccessorIN3c108ArrayRefIlEEKT_Lm3ENS4_16DefaultPtrTraitsElEENS_6detail16IndexBoundsCheckILm4ElEESC_Lm4ESD_lEENS6_INS7_ISA_SB_Lm3ESD_lEESH_SB_Lm4ESD_lEEiiii: ; @_ZN2at6native12_GLOBAL__N_132replication_pad_forward_kernel2dIaEEvN5torch10headeronly6detail27GenericPackedTensorAccessorINS5_14TensorAccessorIN3c108ArrayRefIlEEKT_Lm3ENS4_16DefaultPtrTraitsElEENS_6detail16IndexBoundsCheckILm4ElEESC_Lm4ESD_lEENS6_INS7_ISA_SB_Lm3ESD_lEESH_SB_Lm4ESD_lEEiiii
; %bb.0:
	s_clause 0x1
	s_load_b32 s2, s[0:1], 0xac
	s_load_b128 s[12:15], s[0:1], 0x60
	s_bfe_u32 s5, ttmp6, 0x4000c
	s_and_b32 s4, ttmp6, 15
	s_add_co_i32 s5, s5, 1
	s_getreg_b32 s3, hwreg(HW_REG_IB_STS2, 6, 4)
	s_mul_i32 s5, ttmp9, s5
	s_delay_alu instid0(SALU_CYCLE_1) | instskip(SKIP_4) | instid1(SALU_CYCLE_1)
	s_add_co_i32 s4, s4, s5
	s_wait_kmcnt 0x0
	s_and_b32 s2, s2, 0xffff
	s_cmp_eq_u32 s3, 0
	s_cselect_b32 s4, ttmp9, s4
	v_mad_u32 v0, s4, s2, v0
	s_mul_u64 s[4:5], s[14:15], s[12:13]
	s_mov_b32 s2, exec_lo
	s_delay_alu instid0(VALU_DEP_1) | instskip(NEXT) | instid1(VALU_DEP_1)
	v_ashrrev_i32_e32 v1, 31, v0
	v_cmpx_gt_i64_e64 s[4:5], v[0:1]
	s_cbranch_execz .LBB30_6
; %bb.1:
	v_dual_mov_b32 v2, 0 :: v_dual_bitop2_b32 v3, s15, v1 bitop3:0x54
                                        ; implicit-def: $vgpr4_vgpr5
	s_mov_b32 s2, exec_lo
	s_delay_alu instid0(VALU_DEP_1)
	v_cmpx_ne_u64_e32 0, v[2:3]
	s_xor_b32 s8, exec_lo, s2
	s_cbranch_execz .LBB30_3
; %bb.2:
	s_ashr_i32 s4, s15, 31
	s_mov_b32 s19, 0
	s_mov_b32 s5, s4
	v_dual_mov_b32 v9, v2 :: v_dual_ashrrev_i32 v4, 31, v1
	s_add_nc_u64 s[6:7], s[14:15], s[4:5]
	v_dual_mov_b32 v17, v2 :: v_dual_mov_b32 v3, v2
	s_xor_b64 s[6:7], s[6:7], s[4:5]
	s_delay_alu instid0(VALU_DEP_2) | instskip(SKIP_3) | instid1(VALU_DEP_1)
	v_mov_b32_e32 v5, v4
	s_cvt_f32_u32 s2, s6
	s_cvt_f32_u32 s5, s7
	s_sub_nc_u64 s[12:13], 0, s[6:7]
	v_add_nc_u64_e32 v[6:7], v[0:1], v[4:5]
	s_delay_alu instid0(SALU_CYCLE_1) | instskip(SKIP_1) | instid1(SALU_CYCLE_2)
	s_fmamk_f32 s2, s5, 0x4f800000, s2
	v_mov_b32_e32 v11, v2
	v_s_rcp_f32 s2, s2
	s_delay_alu instid0(VALU_DEP_2) | instskip(NEXT) | instid1(VALU_DEP_3)
	v_xor_b32_e32 v8, v6, v4
	v_xor_b32_e32 v10, v7, v4
	;; [unrolled: 1-line block ×3, first 2 shown]
	s_delay_alu instid0(TRANS32_DEP_1) | instskip(NEXT) | instid1(SALU_CYCLE_3)
	s_mul_f32 s2, s2, 0x5f7ffffc
	s_mul_f32 s5, s2, 0x2f800000
	s_delay_alu instid0(SALU_CYCLE_3) | instskip(NEXT) | instid1(SALU_CYCLE_3)
	s_trunc_f32 s5, s5
	s_fmamk_f32 s2, s5, 0xcf800000, s2
	s_cvt_u32_f32 s11, s5
	s_delay_alu instid0(SALU_CYCLE_2) | instskip(NEXT) | instid1(SALU_CYCLE_3)
	s_cvt_u32_f32 s10, s2
	s_mul_u64 s[16:17], s[12:13], s[10:11]
	s_delay_alu instid0(SALU_CYCLE_1)
	s_mul_hi_u32 s21, s10, s17
	s_mul_i32 s20, s10, s17
	s_mul_hi_u32 s18, s10, s16
	s_mul_i32 s5, s11, s16
	s_add_nc_u64 s[20:21], s[18:19], s[20:21]
	s_mul_hi_u32 s2, s11, s16
	s_mul_hi_u32 s9, s11, s17
	s_add_co_u32 s5, s20, s5
	s_add_co_ci_u32 s18, s21, s2
	s_mul_i32 s16, s11, s17
	s_add_co_ci_u32 s17, s9, 0
	s_delay_alu instid0(SALU_CYCLE_1) | instskip(NEXT) | instid1(SALU_CYCLE_1)
	s_add_nc_u64 s[16:17], s[18:19], s[16:17]
	s_add_co_u32 s10, s10, s16
	s_cselect_b32 s2, -1, 0
	s_delay_alu instid0(SALU_CYCLE_1) | instskip(SKIP_1) | instid1(SALU_CYCLE_1)
	s_cmp_lg_u32 s2, 0
	s_add_co_ci_u32 s11, s11, s17
	s_mul_u64 s[12:13], s[12:13], s[10:11]
	s_delay_alu instid0(SALU_CYCLE_1)
	s_mul_hi_u32 s17, s10, s13
	s_mul_i32 s16, s10, s13
	s_mul_hi_u32 s18, s10, s12
	s_mul_i32 s5, s11, s12
	s_add_nc_u64 s[16:17], s[18:19], s[16:17]
	s_mul_hi_u32 s2, s11, s12
	s_mul_hi_u32 s9, s11, s13
	s_add_co_u32 s5, s16, s5
	s_add_co_ci_u32 s18, s17, s2
	s_mul_i32 s12, s11, s13
	s_add_co_ci_u32 s13, s9, 0
	s_delay_alu instid0(SALU_CYCLE_1) | instskip(NEXT) | instid1(SALU_CYCLE_1)
	s_add_nc_u64 s[12:13], s[18:19], s[12:13]
	s_add_co_u32 s2, s10, s12
	s_cselect_b32 s5, -1, 0
	v_mul_hi_u32 v16, v8, s2
	s_cmp_lg_u32 s5, 0
	s_add_co_ci_u32 s18, s11, s13
	s_mov_b64 s[10:11], 0xffffffff
	v_mul_u64_e32 v[12:13], s[18:19], v[8:9]
	s_and_b64 s[10:11], s[2:3], s[10:11]
	v_mul_u64_e32 v[14:15], s[18:19], v[10:11]
	v_mul_u64_e32 v[6:7], s[10:11], v[10:11]
	s_delay_alu instid0(VALU_DEP_3) | instskip(NEXT) | instid1(VALU_DEP_1)
	v_add_nc_u64_e32 v[12:13], v[16:17], v[12:13]
	v_add_co_u32 v2, vcc_lo, v12, v6
	s_delay_alu instid0(VALU_DEP_2) | instskip(SKIP_1) | instid1(VALU_DEP_1)
	v_add_co_ci_u32_e32 v2, vcc_lo, v13, v7, vcc_lo
	v_add_co_ci_u32_e32 v15, vcc_lo, 0, v15, vcc_lo
	v_add_nc_u64_e32 v[2:3], v[2:3], v[14:15]
	s_delay_alu instid0(VALU_DEP_1) | instskip(NEXT) | instid1(VALU_DEP_1)
	v_mul_u64_e32 v[6:7], s[6:7], v[2:3]
	v_sub_nc_u32_e32 v5, v10, v7
	s_delay_alu instid0(VALU_DEP_2) | instskip(NEXT) | instid1(VALU_DEP_1)
	v_sub_co_u32 v6, vcc_lo, v8, v6
	v_sub_co_ci_u32_e64 v10, null, v10, v7, vcc_lo
	s_delay_alu instid0(VALU_DEP_3) | instskip(NEXT) | instid1(VALU_DEP_3)
	v_subrev_co_ci_u32_e64 v5, null, s7, v5, vcc_lo
	v_sub_co_u32 v8, s2, v6, s6
	s_delay_alu instid0(VALU_DEP_1) | instskip(NEXT) | instid1(VALU_DEP_2)
	v_subrev_co_ci_u32_e64 v5, null, 0, v5, s2
	v_cmp_le_u32_e32 vcc_lo, s6, v8
	v_cndmask_b32_e64 v7, 0, -1, vcc_lo
	s_delay_alu instid0(VALU_DEP_3)
	v_cmp_le_u32_e32 vcc_lo, s7, v5
	v_cndmask_b32_e64 v8, 0, -1, vcc_lo
	v_cmp_le_u32_e32 vcc_lo, s6, v6
	v_cndmask_b32_e64 v11, 0, -1, vcc_lo
	;; [unrolled: 2-line block ×3, first 2 shown]
	v_cmp_eq_u32_e32 vcc_lo, s7, v5
	v_cndmask_b32_e32 v5, v8, v7, vcc_lo
	v_cmp_eq_u32_e32 vcc_lo, s7, v10
	v_add_nc_u64_e32 v[6:7], 2, v[2:3]
	v_add_nc_u64_e32 v[8:9], 1, v[2:3]
	v_cndmask_b32_e32 v10, v12, v11, vcc_lo
	v_cmp_ne_u32_e32 vcc_lo, 0, v5
	s_delay_alu instid0(VALU_DEP_2) | instskip(NEXT) | instid1(VALU_DEP_4)
	v_cmp_ne_u32_e64 s2, 0, v10
	v_dual_cndmask_b32 v6, v8, v6 :: v_dual_cndmask_b32 v5, v9, v7
	s_delay_alu instid0(VALU_DEP_1) | instskip(NEXT) | instid1(VALU_DEP_1)
	v_dual_cndmask_b32 v2, v2, v6, s2 :: v_dual_cndmask_b32 v3, v3, v5, s2
	v_dual_mov_b32 v5, v4 :: v_dual_bitop2_b32 v2, v2, v4 bitop3:0x14
	s_delay_alu instid0(VALU_DEP_2) | instskip(NEXT) | instid1(VALU_DEP_1)
	v_xor_b32_e32 v3, v3, v4
	v_sub_nc_u64_e32 v[4:5], v[2:3], v[4:5]
.LBB30_3:
	s_and_not1_saveexec_b32 s2, s8
	s_cbranch_execz .LBB30_5
; %bb.4:
	v_cvt_f32_u32_e32 v2, s14
	s_sub_co_i32 s4, 0, s14
	s_delay_alu instid0(VALU_DEP_1) | instskip(SKIP_1) | instid1(TRANS32_DEP_1)
	v_rcp_iflag_f32_e32 v2, v2
	v_nop
	v_mul_f32_e32 v2, 0x4f7ffffe, v2
	s_delay_alu instid0(VALU_DEP_1) | instskip(NEXT) | instid1(VALU_DEP_1)
	v_cvt_u32_f32_e32 v2, v2
	v_mul_lo_u32 v3, s4, v2
	s_delay_alu instid0(VALU_DEP_1) | instskip(NEXT) | instid1(VALU_DEP_1)
	v_mul_hi_u32 v3, v2, v3
	v_add_nc_u32_e32 v2, v2, v3
	s_delay_alu instid0(VALU_DEP_1) | instskip(NEXT) | instid1(VALU_DEP_1)
	v_mul_hi_u32 v2, v0, v2
	v_mul_lo_u32 v3, v2, s14
	s_delay_alu instid0(VALU_DEP_1) | instskip(NEXT) | instid1(VALU_DEP_1)
	v_dual_add_nc_u32 v4, 1, v2 :: v_dual_sub_nc_u32 v3, v0, v3
	v_subrev_nc_u32_e32 v5, s14, v3
	v_cmp_le_u32_e32 vcc_lo, s14, v3
	s_delay_alu instid0(VALU_DEP_2) | instskip(NEXT) | instid1(VALU_DEP_4)
	v_dual_cndmask_b32 v3, v3, v5, vcc_lo :: v_dual_mov_b32 v5, 0
	v_cndmask_b32_e32 v2, v2, v4, vcc_lo
	s_delay_alu instid0(VALU_DEP_2) | instskip(NEXT) | instid1(VALU_DEP_2)
	v_cmp_le_u32_e32 vcc_lo, s14, v3
	v_add_nc_u32_e32 v4, 1, v2
	s_delay_alu instid0(VALU_DEP_1)
	v_cndmask_b32_e32 v4, v2, v4, vcc_lo
.LBB30_5:
	s_or_b32 exec_lo, exec_lo, s2
	s_clause 0x1
	s_load_b128 s[16:19], s[0:1], 0x90
	s_load_b256 s[4:11], s[0:1], 0x18
	s_wait_kmcnt 0x0
	s_bfe_u32 s5, ttmp6, 0x40014
	s_bfe_u32 s12, ttmp6, 0x40010
	s_lshr_b32 s2, ttmp7, 16
	s_and_b32 s22, ttmp7, 0xffff
	s_load_b64 s[20:21], s[0:1], 0x0
	s_add_co_i32 s5, s5, 1
	s_add_co_i32 s12, s12, 1
	s_bfe_u32 s7, ttmp6, 0x40008
	s_bfe_u32 s13, ttmp6, 0x40004
	s_mul_i32 s5, s2, s5
	s_mul_i32 s12, s22, s12
	v_mul_u64_e32 v[2:3], s[14:15], v[4:5]
	s_add_co_i32 s7, s7, s5
	s_add_co_i32 s5, s13, s12
	s_load_b128 s[12:15], s[0:1], 0x38
	s_cmp_eq_u32 s3, 0
	s_cselect_b32 s2, s2, s7
	s_cselect_b32 s3, s22, s5
	s_add_co_i32 s4, s16, s4
	s_sub_co_i32 s5, 0, s16
	s_add_co_i32 s4, s4, -1
	s_add_co_i32 s2, s19, s2
	v_maxmin_i32 v5, s16, v4, s4
	s_max_i32 s5, s5, 0
	s_max_i32 s4, s16, 0
	s_add_co_i32 s18, s18, s3
	s_sub_co_i32 s4, s5, s4
	s_ashr_i32 s3, s2, 31
	v_add_nc_u32_e32 v5, s4, v5
	s_mul_u64 s[4:5], s[8:9], s[2:3]
	s_ashr_i32 s19, s18, 31
	s_wait_kmcnt 0x0
	s_add_nc_u64 s[4:5], s[20:21], s[4:5]
	s_mul_u64 s[8:9], s[10:11], s[18:19]
	s_delay_alu instid0(SALU_CYCLE_1) | instskip(NEXT) | instid1(SALU_CYCLE_1)
	s_add_nc_u64 s[4:5], s[4:5], s[8:9]
	v_mad_nc_u64_u32 v[6:7], s12, v5, s[4:5]
	s_add_co_i32 s5, s17, s6
	s_sub_co_i32 s4, 0, s17
	s_add_co_i32 s5, s5, -1
	s_max_i32 s4, s4, 0
	s_delay_alu instid0(VALU_DEP_4) | instskip(SKIP_1) | instid1(VALU_DEP_3)
	v_sub_nc_u64_e32 v[0:1], v[0:1], v[2:3]
	v_ashrrev_i32_e32 v2, 31, v5
	v_mad_u32 v7, s13, v5, v7
	s_delay_alu instid0(VALU_DEP_1) | instskip(NEXT) | instid1(VALU_DEP_4)
	v_mad_u32 v7, s12, v2, v7
	v_maxmin_i32 v2, s17, v0, s5
	s_max_i32 s5, s17, 0
	s_delay_alu instid0(SALU_CYCLE_1)
	s_sub_co_i32 s4, s4, s5
	s_delay_alu instid0(VALU_DEP_1) | instid1(SALU_CYCLE_1)
	v_add_nc_u32_e32 v5, s4, v2
	s_delay_alu instid0(VALU_DEP_1) | instskip(NEXT) | instid1(VALU_DEP_1)
	v_mad_nc_u64_u32 v[2:3], s14, v5, v[6:7]
	v_mad_u32 v3, s15, v5, v3
	v_ashrrev_i32_e32 v5, 31, v5
	s_delay_alu instid0(VALU_DEP_1)
	v_mad_u32 v3, s14, v5, v3
	global_load_u8 v5, v[2:3], off
	s_clause 0x1
	s_load_b256 s[4:11], s[0:1], 0x70
	s_load_b64 s[12:13], s[0:1], 0x48
	s_wait_kmcnt 0x0
	s_mul_u64 s[0:1], s[4:5], s[2:3]
	s_mul_u64 s[2:3], s[6:7], s[18:19]
	s_add_nc_u64 s[0:1], s[12:13], s[0:1]
	s_delay_alu instid0(SALU_CYCLE_1) | instskip(NEXT) | instid1(SALU_CYCLE_1)
	s_add_nc_u64 s[0:1], s[0:1], s[2:3]
	v_mad_nc_u64_u32 v[2:3], s8, v4, s[0:1]
	s_delay_alu instid0(VALU_DEP_1) | instskip(SKIP_1) | instid1(VALU_DEP_1)
	v_mad_u32 v3, s9, v4, v3
	v_ashrrev_i32_e32 v4, 31, v4
	v_mad_u32 v3, s8, v4, v3
	s_delay_alu instid0(VALU_DEP_1) | instskip(NEXT) | instid1(VALU_DEP_1)
	v_mad_nc_u64_u32 v[2:3], s10, v0, v[2:3]
	v_mad_u32 v0, s11, v0, v3
	s_delay_alu instid0(VALU_DEP_1)
	v_mad_u32 v3, s10, v1, v0
	s_wait_loadcnt 0x0
	global_store_b8 v[2:3], v5, off
.LBB30_6:
	s_endpgm
	.section	.rodata,"a",@progbits
	.p2align	6, 0x0
	.amdhsa_kernel _ZN2at6native12_GLOBAL__N_132replication_pad_forward_kernel2dIaEEvN5torch10headeronly6detail27GenericPackedTensorAccessorINS5_14TensorAccessorIN3c108ArrayRefIlEEKT_Lm3ENS4_16DefaultPtrTraitsElEENS_6detail16IndexBoundsCheckILm4ElEESC_Lm4ESD_lEENS6_INS7_ISA_SB_Lm3ESD_lEESH_SB_Lm4ESD_lEEiiii
		.amdhsa_group_segment_fixed_size 0
		.amdhsa_private_segment_fixed_size 0
		.amdhsa_kernarg_size 416
		.amdhsa_user_sgpr_count 2
		.amdhsa_user_sgpr_dispatch_ptr 0
		.amdhsa_user_sgpr_queue_ptr 0
		.amdhsa_user_sgpr_kernarg_segment_ptr 1
		.amdhsa_user_sgpr_dispatch_id 0
		.amdhsa_user_sgpr_kernarg_preload_length 0
		.amdhsa_user_sgpr_kernarg_preload_offset 0
		.amdhsa_user_sgpr_private_segment_size 0
		.amdhsa_wavefront_size32 1
		.amdhsa_uses_dynamic_stack 0
		.amdhsa_enable_private_segment 0
		.amdhsa_system_sgpr_workgroup_id_x 1
		.amdhsa_system_sgpr_workgroup_id_y 1
		.amdhsa_system_sgpr_workgroup_id_z 1
		.amdhsa_system_sgpr_workgroup_info 0
		.amdhsa_system_vgpr_workitem_id 0
		.amdhsa_next_free_vgpr 18
		.amdhsa_next_free_sgpr 23
		.amdhsa_named_barrier_count 0
		.amdhsa_reserve_vcc 1
		.amdhsa_float_round_mode_32 0
		.amdhsa_float_round_mode_16_64 0
		.amdhsa_float_denorm_mode_32 3
		.amdhsa_float_denorm_mode_16_64 3
		.amdhsa_fp16_overflow 0
		.amdhsa_memory_ordered 1
		.amdhsa_forward_progress 1
		.amdhsa_inst_pref_size 11
		.amdhsa_round_robin_scheduling 0
		.amdhsa_exception_fp_ieee_invalid_op 0
		.amdhsa_exception_fp_denorm_src 0
		.amdhsa_exception_fp_ieee_div_zero 0
		.amdhsa_exception_fp_ieee_overflow 0
		.amdhsa_exception_fp_ieee_underflow 0
		.amdhsa_exception_fp_ieee_inexact 0
		.amdhsa_exception_int_div_zero 0
	.end_amdhsa_kernel
	.section	.text._ZN2at6native12_GLOBAL__N_132replication_pad_forward_kernel2dIaEEvN5torch10headeronly6detail27GenericPackedTensorAccessorINS5_14TensorAccessorIN3c108ArrayRefIlEEKT_Lm3ENS4_16DefaultPtrTraitsElEENS_6detail16IndexBoundsCheckILm4ElEESC_Lm4ESD_lEENS6_INS7_ISA_SB_Lm3ESD_lEESH_SB_Lm4ESD_lEEiiii,"axG",@progbits,_ZN2at6native12_GLOBAL__N_132replication_pad_forward_kernel2dIaEEvN5torch10headeronly6detail27GenericPackedTensorAccessorINS5_14TensorAccessorIN3c108ArrayRefIlEEKT_Lm3ENS4_16DefaultPtrTraitsElEENS_6detail16IndexBoundsCheckILm4ElEESC_Lm4ESD_lEENS6_INS7_ISA_SB_Lm3ESD_lEESH_SB_Lm4ESD_lEEiiii,comdat
.Lfunc_end30:
	.size	_ZN2at6native12_GLOBAL__N_132replication_pad_forward_kernel2dIaEEvN5torch10headeronly6detail27GenericPackedTensorAccessorINS5_14TensorAccessorIN3c108ArrayRefIlEEKT_Lm3ENS4_16DefaultPtrTraitsElEENS_6detail16IndexBoundsCheckILm4ElEESC_Lm4ESD_lEENS6_INS7_ISA_SB_Lm3ESD_lEESH_SB_Lm4ESD_lEEiiii, .Lfunc_end30-_ZN2at6native12_GLOBAL__N_132replication_pad_forward_kernel2dIaEEvN5torch10headeronly6detail27GenericPackedTensorAccessorINS5_14TensorAccessorIN3c108ArrayRefIlEEKT_Lm3ENS4_16DefaultPtrTraitsElEENS_6detail16IndexBoundsCheckILm4ElEESC_Lm4ESD_lEENS6_INS7_ISA_SB_Lm3ESD_lEESH_SB_Lm4ESD_lEEiiii
                                        ; -- End function
	.set _ZN2at6native12_GLOBAL__N_132replication_pad_forward_kernel2dIaEEvN5torch10headeronly6detail27GenericPackedTensorAccessorINS5_14TensorAccessorIN3c108ArrayRefIlEEKT_Lm3ENS4_16DefaultPtrTraitsElEENS_6detail16IndexBoundsCheckILm4ElEESC_Lm4ESD_lEENS6_INS7_ISA_SB_Lm3ESD_lEESH_SB_Lm4ESD_lEEiiii.num_vgpr, 18
	.set _ZN2at6native12_GLOBAL__N_132replication_pad_forward_kernel2dIaEEvN5torch10headeronly6detail27GenericPackedTensorAccessorINS5_14TensorAccessorIN3c108ArrayRefIlEEKT_Lm3ENS4_16DefaultPtrTraitsElEENS_6detail16IndexBoundsCheckILm4ElEESC_Lm4ESD_lEENS6_INS7_ISA_SB_Lm3ESD_lEESH_SB_Lm4ESD_lEEiiii.num_agpr, 0
	.set _ZN2at6native12_GLOBAL__N_132replication_pad_forward_kernel2dIaEEvN5torch10headeronly6detail27GenericPackedTensorAccessorINS5_14TensorAccessorIN3c108ArrayRefIlEEKT_Lm3ENS4_16DefaultPtrTraitsElEENS_6detail16IndexBoundsCheckILm4ElEESC_Lm4ESD_lEENS6_INS7_ISA_SB_Lm3ESD_lEESH_SB_Lm4ESD_lEEiiii.numbered_sgpr, 23
	.set _ZN2at6native12_GLOBAL__N_132replication_pad_forward_kernel2dIaEEvN5torch10headeronly6detail27GenericPackedTensorAccessorINS5_14TensorAccessorIN3c108ArrayRefIlEEKT_Lm3ENS4_16DefaultPtrTraitsElEENS_6detail16IndexBoundsCheckILm4ElEESC_Lm4ESD_lEENS6_INS7_ISA_SB_Lm3ESD_lEESH_SB_Lm4ESD_lEEiiii.num_named_barrier, 0
	.set _ZN2at6native12_GLOBAL__N_132replication_pad_forward_kernel2dIaEEvN5torch10headeronly6detail27GenericPackedTensorAccessorINS5_14TensorAccessorIN3c108ArrayRefIlEEKT_Lm3ENS4_16DefaultPtrTraitsElEENS_6detail16IndexBoundsCheckILm4ElEESC_Lm4ESD_lEENS6_INS7_ISA_SB_Lm3ESD_lEESH_SB_Lm4ESD_lEEiiii.private_seg_size, 0
	.set _ZN2at6native12_GLOBAL__N_132replication_pad_forward_kernel2dIaEEvN5torch10headeronly6detail27GenericPackedTensorAccessorINS5_14TensorAccessorIN3c108ArrayRefIlEEKT_Lm3ENS4_16DefaultPtrTraitsElEENS_6detail16IndexBoundsCheckILm4ElEESC_Lm4ESD_lEENS6_INS7_ISA_SB_Lm3ESD_lEESH_SB_Lm4ESD_lEEiiii.uses_vcc, 1
	.set _ZN2at6native12_GLOBAL__N_132replication_pad_forward_kernel2dIaEEvN5torch10headeronly6detail27GenericPackedTensorAccessorINS5_14TensorAccessorIN3c108ArrayRefIlEEKT_Lm3ENS4_16DefaultPtrTraitsElEENS_6detail16IndexBoundsCheckILm4ElEESC_Lm4ESD_lEENS6_INS7_ISA_SB_Lm3ESD_lEESH_SB_Lm4ESD_lEEiiii.uses_flat_scratch, 0
	.set _ZN2at6native12_GLOBAL__N_132replication_pad_forward_kernel2dIaEEvN5torch10headeronly6detail27GenericPackedTensorAccessorINS5_14TensorAccessorIN3c108ArrayRefIlEEKT_Lm3ENS4_16DefaultPtrTraitsElEENS_6detail16IndexBoundsCheckILm4ElEESC_Lm4ESD_lEENS6_INS7_ISA_SB_Lm3ESD_lEESH_SB_Lm4ESD_lEEiiii.has_dyn_sized_stack, 0
	.set _ZN2at6native12_GLOBAL__N_132replication_pad_forward_kernel2dIaEEvN5torch10headeronly6detail27GenericPackedTensorAccessorINS5_14TensorAccessorIN3c108ArrayRefIlEEKT_Lm3ENS4_16DefaultPtrTraitsElEENS_6detail16IndexBoundsCheckILm4ElEESC_Lm4ESD_lEENS6_INS7_ISA_SB_Lm3ESD_lEESH_SB_Lm4ESD_lEEiiii.has_recursion, 0
	.set _ZN2at6native12_GLOBAL__N_132replication_pad_forward_kernel2dIaEEvN5torch10headeronly6detail27GenericPackedTensorAccessorINS5_14TensorAccessorIN3c108ArrayRefIlEEKT_Lm3ENS4_16DefaultPtrTraitsElEENS_6detail16IndexBoundsCheckILm4ElEESC_Lm4ESD_lEENS6_INS7_ISA_SB_Lm3ESD_lEESH_SB_Lm4ESD_lEEiiii.has_indirect_call, 0
	.section	.AMDGPU.csdata,"",@progbits
; Kernel info:
; codeLenInByte = 1332
; TotalNumSgprs: 25
; NumVgprs: 18
; ScratchSize: 0
; MemoryBound: 0
; FloatMode: 240
; IeeeMode: 1
; LDSByteSize: 0 bytes/workgroup (compile time only)
; SGPRBlocks: 0
; VGPRBlocks: 1
; NumSGPRsForWavesPerEU: 25
; NumVGPRsForWavesPerEU: 18
; NamedBarCnt: 0
; Occupancy: 16
; WaveLimiterHint : 1
; COMPUTE_PGM_RSRC2:SCRATCH_EN: 0
; COMPUTE_PGM_RSRC2:USER_SGPR: 2
; COMPUTE_PGM_RSRC2:TRAP_HANDLER: 0
; COMPUTE_PGM_RSRC2:TGID_X_EN: 1
; COMPUTE_PGM_RSRC2:TGID_Y_EN: 1
; COMPUTE_PGM_RSRC2:TGID_Z_EN: 1
; COMPUTE_PGM_RSRC2:TIDIG_COMP_CNT: 0
	.section	.text._ZN2at6native12_GLOBAL__N_132replication_pad_forward_kernel2dIiEEvN5torch10headeronly6detail27GenericPackedTensorAccessorINS5_14TensorAccessorIN3c108ArrayRefIlEEKT_Lm3ENS4_16DefaultPtrTraitsElEENS_6detail16IndexBoundsCheckILm4ElEESC_Lm4ESD_lEENS6_INS7_ISA_SB_Lm3ESD_lEESH_SB_Lm4ESD_lEEiiii,"axG",@progbits,_ZN2at6native12_GLOBAL__N_132replication_pad_forward_kernel2dIiEEvN5torch10headeronly6detail27GenericPackedTensorAccessorINS5_14TensorAccessorIN3c108ArrayRefIlEEKT_Lm3ENS4_16DefaultPtrTraitsElEENS_6detail16IndexBoundsCheckILm4ElEESC_Lm4ESD_lEENS6_INS7_ISA_SB_Lm3ESD_lEESH_SB_Lm4ESD_lEEiiii,comdat
	.globl	_ZN2at6native12_GLOBAL__N_132replication_pad_forward_kernel2dIiEEvN5torch10headeronly6detail27GenericPackedTensorAccessorINS5_14TensorAccessorIN3c108ArrayRefIlEEKT_Lm3ENS4_16DefaultPtrTraitsElEENS_6detail16IndexBoundsCheckILm4ElEESC_Lm4ESD_lEENS6_INS7_ISA_SB_Lm3ESD_lEESH_SB_Lm4ESD_lEEiiii ; -- Begin function _ZN2at6native12_GLOBAL__N_132replication_pad_forward_kernel2dIiEEvN5torch10headeronly6detail27GenericPackedTensorAccessorINS5_14TensorAccessorIN3c108ArrayRefIlEEKT_Lm3ENS4_16DefaultPtrTraitsElEENS_6detail16IndexBoundsCheckILm4ElEESC_Lm4ESD_lEENS6_INS7_ISA_SB_Lm3ESD_lEESH_SB_Lm4ESD_lEEiiii
	.p2align	8
	.type	_ZN2at6native12_GLOBAL__N_132replication_pad_forward_kernel2dIiEEvN5torch10headeronly6detail27GenericPackedTensorAccessorINS5_14TensorAccessorIN3c108ArrayRefIlEEKT_Lm3ENS4_16DefaultPtrTraitsElEENS_6detail16IndexBoundsCheckILm4ElEESC_Lm4ESD_lEENS6_INS7_ISA_SB_Lm3ESD_lEESH_SB_Lm4ESD_lEEiiii,@function
_ZN2at6native12_GLOBAL__N_132replication_pad_forward_kernel2dIiEEvN5torch10headeronly6detail27GenericPackedTensorAccessorINS5_14TensorAccessorIN3c108ArrayRefIlEEKT_Lm3ENS4_16DefaultPtrTraitsElEENS_6detail16IndexBoundsCheckILm4ElEESC_Lm4ESD_lEENS6_INS7_ISA_SB_Lm3ESD_lEESH_SB_Lm4ESD_lEEiiii: ; @_ZN2at6native12_GLOBAL__N_132replication_pad_forward_kernel2dIiEEvN5torch10headeronly6detail27GenericPackedTensorAccessorINS5_14TensorAccessorIN3c108ArrayRefIlEEKT_Lm3ENS4_16DefaultPtrTraitsElEENS_6detail16IndexBoundsCheckILm4ElEESC_Lm4ESD_lEENS6_INS7_ISA_SB_Lm3ESD_lEESH_SB_Lm4ESD_lEEiiii
; %bb.0:
	s_load_b32 s2, s[0:1], 0xac
	s_bfe_u32 s4, ttmp6, 0x4000c
	s_and_b32 s8, ttmp6, 15
	s_add_co_i32 s9, s4, 1
	s_getreg_b32 s3, hwreg(HW_REG_IB_STS2, 6, 4)
	s_mul_i32 s9, ttmp9, s9
	s_load_b128 s[4:7], s[0:1], 0x60
	s_add_co_i32 s8, s8, s9
	s_wait_kmcnt 0x0
	s_and_b32 s2, s2, 0xffff
	s_cmp_eq_u32 s3, 0
	s_cselect_b32 s8, ttmp9, s8
	s_delay_alu instid0(SALU_CYCLE_1) | instskip(SKIP_2) | instid1(VALU_DEP_1)
	v_mad_u32 v0, s8, s2, v0
	s_mul_u64 s[4:5], s[6:7], s[4:5]
	s_mov_b32 s2, exec_lo
	v_ashrrev_i32_e32 v1, 31, v0
	s_delay_alu instid0(VALU_DEP_1)
	v_cmpx_gt_i64_e64 s[4:5], v[0:1]
	s_cbranch_execz .LBB31_6
; %bb.1:
	v_dual_mov_b32 v4, 0 :: v_dual_bitop2_b32 v5, s7, v1 bitop3:0x54
                                        ; implicit-def: $vgpr2_vgpr3
	s_mov_b32 s2, exec_lo
	s_delay_alu instid0(VALU_DEP_1)
	v_cmpx_ne_u64_e32 0, v[4:5]
	s_xor_b32 s10, exec_lo, s2
	s_cbranch_execz .LBB31_3
; %bb.2:
	s_ashr_i32 s4, s7, 31
	s_mov_b32 s19, 0
	s_mov_b32 s5, s4
	v_dual_mov_b32 v9, v4 :: v_dual_ashrrev_i32 v2, 31, v1
	s_add_nc_u64 s[8:9], s[6:7], s[4:5]
	v_mov_b32_e32 v11, v4
	s_xor_b64 s[8:9], s[8:9], s[4:5]
	s_delay_alu instid0(VALU_DEP_2)
	v_mov_b32_e32 v3, v2
	s_cvt_f32_u32 s2, s8
	s_cvt_f32_u32 s5, s9
	s_sub_nc_u64 s[14:15], 0, s[8:9]
	v_mov_b32_e32 v17, v4
	v_add_nc_u64_e32 v[6:7], v[0:1], v[2:3]
	s_fmamk_f32 s2, s5, 0x4f800000, s2
	v_mov_b32_e32 v5, v4
	s_delay_alu instid0(SALU_CYCLE_2) | instskip(NEXT) | instid1(VALU_DEP_2)
	v_s_rcp_f32 s2, s2
	v_xor_b32_e32 v8, v6, v2
	s_delay_alu instid0(VALU_DEP_3) | instskip(SKIP_1) | instid1(TRANS32_DEP_1)
	v_xor_b32_e32 v10, v7, v2
	v_xor_b32_e32 v2, s4, v2
	s_mul_f32 s2, s2, 0x5f7ffffc
	s_delay_alu instid0(SALU_CYCLE_3) | instskip(NEXT) | instid1(SALU_CYCLE_3)
	s_mul_f32 s5, s2, 0x2f800000
	s_trunc_f32 s5, s5
	s_delay_alu instid0(SALU_CYCLE_3) | instskip(SKIP_1) | instid1(SALU_CYCLE_2)
	s_fmamk_f32 s2, s5, 0xcf800000, s2
	s_cvt_u32_f32 s13, s5
	s_cvt_u32_f32 s12, s2
	s_delay_alu instid0(SALU_CYCLE_3) | instskip(NEXT) | instid1(SALU_CYCLE_1)
	s_mul_u64 s[16:17], s[14:15], s[12:13]
	s_mul_hi_u32 s21, s12, s17
	s_mul_i32 s20, s12, s17
	s_mul_hi_u32 s18, s12, s16
	s_mul_i32 s5, s13, s16
	s_add_nc_u64 s[20:21], s[18:19], s[20:21]
	s_mul_hi_u32 s2, s13, s16
	s_mul_hi_u32 s11, s13, s17
	s_add_co_u32 s5, s20, s5
	s_add_co_ci_u32 s18, s21, s2
	s_mul_i32 s16, s13, s17
	s_add_co_ci_u32 s17, s11, 0
	s_delay_alu instid0(SALU_CYCLE_1) | instskip(NEXT) | instid1(SALU_CYCLE_1)
	s_add_nc_u64 s[16:17], s[18:19], s[16:17]
	s_add_co_u32 s12, s12, s16
	s_cselect_b32 s2, -1, 0
	s_delay_alu instid0(SALU_CYCLE_1) | instskip(SKIP_1) | instid1(SALU_CYCLE_1)
	s_cmp_lg_u32 s2, 0
	s_add_co_ci_u32 s13, s13, s17
	s_mul_u64 s[14:15], s[14:15], s[12:13]
	s_delay_alu instid0(SALU_CYCLE_1)
	s_mul_hi_u32 s17, s12, s15
	s_mul_i32 s16, s12, s15
	s_mul_hi_u32 s18, s12, s14
	s_mul_i32 s5, s13, s14
	s_add_nc_u64 s[16:17], s[18:19], s[16:17]
	s_mul_hi_u32 s2, s13, s14
	s_mul_hi_u32 s11, s13, s15
	s_add_co_u32 s5, s16, s5
	s_add_co_ci_u32 s18, s17, s2
	s_mul_i32 s14, s13, s15
	s_add_co_ci_u32 s15, s11, 0
	s_delay_alu instid0(SALU_CYCLE_1) | instskip(NEXT) | instid1(SALU_CYCLE_1)
	s_add_nc_u64 s[14:15], s[18:19], s[14:15]
	s_add_co_u32 s2, s12, s14
	s_cselect_b32 s5, -1, 0
	v_mul_hi_u32 v16, v8, s2
	s_cmp_lg_u32 s5, 0
	s_add_co_ci_u32 s18, s13, s15
	s_mov_b64 s[12:13], 0xffffffff
	v_mul_u64_e32 v[12:13], s[18:19], v[8:9]
	s_and_b64 s[12:13], s[2:3], s[12:13]
	v_mul_u64_e32 v[14:15], s[18:19], v[10:11]
	v_mul_u64_e32 v[6:7], s[12:13], v[10:11]
	s_delay_alu instid0(VALU_DEP_3) | instskip(NEXT) | instid1(VALU_DEP_1)
	v_add_nc_u64_e32 v[12:13], v[16:17], v[12:13]
	v_add_co_u32 v3, vcc_lo, v12, v6
	s_delay_alu instid0(VALU_DEP_2) | instskip(SKIP_1) | instid1(VALU_DEP_1)
	v_add_co_ci_u32_e32 v4, vcc_lo, v13, v7, vcc_lo
	v_add_co_ci_u32_e32 v15, vcc_lo, 0, v15, vcc_lo
	v_add_nc_u64_e32 v[4:5], v[4:5], v[14:15]
	s_delay_alu instid0(VALU_DEP_1) | instskip(NEXT) | instid1(VALU_DEP_1)
	v_mul_u64_e32 v[6:7], s[8:9], v[4:5]
	v_sub_nc_u32_e32 v3, v10, v7
	s_delay_alu instid0(VALU_DEP_2) | instskip(NEXT) | instid1(VALU_DEP_1)
	v_sub_co_u32 v6, vcc_lo, v8, v6
	v_sub_co_ci_u32_e64 v10, null, v10, v7, vcc_lo
	s_delay_alu instid0(VALU_DEP_3) | instskip(NEXT) | instid1(VALU_DEP_3)
	v_subrev_co_ci_u32_e64 v3, null, s9, v3, vcc_lo
	v_sub_co_u32 v8, s2, v6, s8
	s_delay_alu instid0(VALU_DEP_1) | instskip(NEXT) | instid1(VALU_DEP_2)
	v_subrev_co_ci_u32_e64 v3, null, 0, v3, s2
	v_cmp_le_u32_e32 vcc_lo, s8, v8
	v_cndmask_b32_e64 v7, 0, -1, vcc_lo
	s_delay_alu instid0(VALU_DEP_3)
	v_cmp_le_u32_e32 vcc_lo, s9, v3
	v_cndmask_b32_e64 v8, 0, -1, vcc_lo
	v_cmp_le_u32_e32 vcc_lo, s8, v6
	v_cndmask_b32_e64 v11, 0, -1, vcc_lo
	;; [unrolled: 2-line block ×3, first 2 shown]
	v_cmp_eq_u32_e32 vcc_lo, s9, v3
	v_cndmask_b32_e32 v3, v8, v7, vcc_lo
	v_cmp_eq_u32_e32 vcc_lo, s9, v10
	v_add_nc_u64_e32 v[6:7], 2, v[4:5]
	v_add_nc_u64_e32 v[8:9], 1, v[4:5]
	v_cndmask_b32_e32 v10, v12, v11, vcc_lo
	v_cmp_ne_u32_e32 vcc_lo, 0, v3
	s_delay_alu instid0(VALU_DEP_2) | instskip(NEXT) | instid1(VALU_DEP_4)
	v_cmp_ne_u32_e64 s2, 0, v10
	v_dual_cndmask_b32 v6, v8, v6 :: v_dual_cndmask_b32 v3, v9, v7
	s_delay_alu instid0(VALU_DEP_1) | instskip(NEXT) | instid1(VALU_DEP_1)
	v_dual_cndmask_b32 v4, v4, v6, s2 :: v_dual_cndmask_b32 v5, v5, v3, s2
	v_dual_mov_b32 v3, v2 :: v_dual_bitop2_b32 v4, v4, v2 bitop3:0x14
	s_delay_alu instid0(VALU_DEP_2) | instskip(NEXT) | instid1(VALU_DEP_1)
	v_xor_b32_e32 v5, v5, v2
	v_sub_nc_u64_e32 v[2:3], v[4:5], v[2:3]
.LBB31_3:
	s_and_not1_saveexec_b32 s2, s10
	s_cbranch_execz .LBB31_5
; %bb.4:
	v_cvt_f32_u32_e32 v2, s6
	s_sub_co_i32 s4, 0, s6
	s_delay_alu instid0(VALU_DEP_1) | instskip(SKIP_1) | instid1(TRANS32_DEP_1)
	v_rcp_iflag_f32_e32 v2, v2
	v_nop
	v_mul_f32_e32 v2, 0x4f7ffffe, v2
	s_delay_alu instid0(VALU_DEP_1) | instskip(NEXT) | instid1(VALU_DEP_1)
	v_cvt_u32_f32_e32 v2, v2
	v_mul_lo_u32 v3, s4, v2
	s_delay_alu instid0(VALU_DEP_1) | instskip(NEXT) | instid1(VALU_DEP_1)
	v_mul_hi_u32 v3, v2, v3
	v_add_nc_u32_e32 v2, v2, v3
	s_delay_alu instid0(VALU_DEP_1) | instskip(NEXT) | instid1(VALU_DEP_1)
	v_mul_hi_u32 v2, v0, v2
	v_mul_lo_u32 v3, v2, s6
	s_delay_alu instid0(VALU_DEP_1) | instskip(NEXT) | instid1(VALU_DEP_1)
	v_dual_add_nc_u32 v4, 1, v2 :: v_dual_sub_nc_u32 v3, v0, v3
	v_subrev_nc_u32_e32 v5, s6, v3
	v_cmp_le_u32_e32 vcc_lo, s6, v3
	s_delay_alu instid0(VALU_DEP_2) | instskip(NEXT) | instid1(VALU_DEP_1)
	v_dual_cndmask_b32 v3, v3, v5 :: v_dual_cndmask_b32 v2, v2, v4
	v_cmp_le_u32_e32 vcc_lo, s6, v3
	s_delay_alu instid0(VALU_DEP_2) | instskip(NEXT) | instid1(VALU_DEP_1)
	v_dual_mov_b32 v3, 0 :: v_dual_add_nc_u32 v4, 1, v2
	v_cndmask_b32_e32 v2, v2, v4, vcc_lo
.LBB31_5:
	s_or_b32 exec_lo, exec_lo, s2
	s_delay_alu instid0(VALU_DEP_1)
	v_mul_u64_e32 v[4:5], s[6:7], v[2:3]
	s_clause 0x1
	s_load_b128 s[12:15], s[0:1], 0x90
	s_load_b256 s[4:11], s[0:1], 0x18
	s_wait_kmcnt 0x0
	s_bfe_u32 s5, ttmp6, 0x40014
	s_bfe_u32 s16, ttmp6, 0x40010
	s_lshr_b32 s2, ttmp7, 16
	s_and_b32 s20, ttmp7, 0xffff
	s_add_co_i32 s5, s5, 1
	s_add_co_i32 s16, s16, 1
	s_bfe_u32 s7, ttmp6, 0x40008
	s_bfe_u32 s17, ttmp6, 0x40004
	s_mul_i32 s5, s2, s5
	s_mul_i32 s16, s20, s16
	s_add_co_i32 s7, s7, s5
	s_add_co_i32 s5, s17, s16
	s_cmp_eq_u32 s3, 0
	s_load_b128 s[16:19], s[0:1], 0x38
	s_cselect_b32 s5, s20, s5
	s_cselect_b32 s7, s2, s7
	s_sub_co_i32 s3, 0, s12
	s_add_co_i32 s4, s12, s4
	s_max_i32 s3, s3, 0
	s_add_co_i32 s4, s4, -1
	s_add_co_i32 s6, s13, s6
	v_maxmin_i32 v3, s12, v2, s4
	s_max_i32 s4, s12, 0
	s_add_co_i32 s6, s6, -1
	s_sub_co_i32 s3, s3, s4
	s_sub_co_i32 s2, 0, s13
	s_add_co_i32 s12, s15, s7
	s_max_i32 s2, s2, 0
	v_sub_nc_u64_e32 v[0:1], v[0:1], v[4:5]
	v_add_nc_u32_e32 v4, s3, v3
	s_max_i32 s3, s13, 0
	s_add_co_i32 s14, s14, s5
	s_sub_co_i32 s2, s2, s3
	s_ashr_i32 s15, s14, 31
	s_delay_alu instid0(VALU_DEP_2) | instskip(SKIP_3) | instid1(SALU_CYCLE_1)
	v_maxmin_i32 v3, s13, v0, s6
	s_ashr_i32 s13, s12, 31
	s_mul_u64 s[6:7], s[10:11], s[14:15]
	s_mul_u64 s[4:5], s[8:9], s[12:13]
	s_lshl_b64 s[4:5], s[4:5], 2
	v_dual_add_nc_u32 v6, s2, v3 :: v_dual_ashrrev_i32 v5, 31, v4
	s_load_b64 s[2:3], s[0:1], 0x0
	v_ashrrev_i32_e32 v3, 31, v2
	s_delay_alu instid0(VALU_DEP_2) | instskip(SKIP_2) | instid1(VALU_DEP_2)
	v_ashrrev_i32_e32 v7, 31, v6
	s_wait_kmcnt 0x0
	v_mul_u64_e32 v[4:5], s[16:17], v[4:5]
	v_mul_u64_e32 v[6:7], s[18:19], v[6:7]
	s_add_nc_u64 s[2:3], s[2:3], s[4:5]
	s_lshl_b64 s[4:5], s[6:7], 2
	s_delay_alu instid0(SALU_CYCLE_1) | instskip(SKIP_1) | instid1(VALU_DEP_2)
	s_add_nc_u64 s[2:3], s[2:3], s[4:5]
	s_load_b256 s[4:11], s[0:1], 0x70
	v_lshl_add_u64 v[4:5], v[4:5], 2, s[2:3]
	s_wait_xcnt 0x0
	s_load_b64 s[0:1], s[0:1], 0x48
	s_delay_alu instid0(VALU_DEP_1)
	v_lshl_add_u64 v[4:5], v[6:7], 2, v[4:5]
	s_wait_kmcnt 0x0
	v_mul_u64_e32 v[2:3], s[8:9], v[2:3]
	v_mul_u64_e32 v[0:1], s[10:11], v[0:1]
	global_load_b32 v4, v[4:5], off
	s_mul_u64 s[2:3], s[4:5], s[12:13]
	s_mul_u64 s[4:5], s[6:7], s[14:15]
	s_lshl_b64 s[2:3], s[2:3], 2
	s_delay_alu instid0(SALU_CYCLE_1) | instskip(SKIP_1) | instid1(SALU_CYCLE_1)
	s_add_nc_u64 s[0:1], s[0:1], s[2:3]
	s_lshl_b64 s[2:3], s[4:5], 2
	s_add_nc_u64 s[0:1], s[0:1], s[2:3]
	s_delay_alu instid0(SALU_CYCLE_1) | instskip(NEXT) | instid1(VALU_DEP_1)
	v_lshl_add_u64 v[2:3], v[2:3], 2, s[0:1]
	v_lshl_add_u64 v[0:1], v[0:1], 2, v[2:3]
	s_wait_loadcnt 0x0
	global_store_b32 v[0:1], v4, off
.LBB31_6:
	s_endpgm
	.section	.rodata,"a",@progbits
	.p2align	6, 0x0
	.amdhsa_kernel _ZN2at6native12_GLOBAL__N_132replication_pad_forward_kernel2dIiEEvN5torch10headeronly6detail27GenericPackedTensorAccessorINS5_14TensorAccessorIN3c108ArrayRefIlEEKT_Lm3ENS4_16DefaultPtrTraitsElEENS_6detail16IndexBoundsCheckILm4ElEESC_Lm4ESD_lEENS6_INS7_ISA_SB_Lm3ESD_lEESH_SB_Lm4ESD_lEEiiii
		.amdhsa_group_segment_fixed_size 0
		.amdhsa_private_segment_fixed_size 0
		.amdhsa_kernarg_size 416
		.amdhsa_user_sgpr_count 2
		.amdhsa_user_sgpr_dispatch_ptr 0
		.amdhsa_user_sgpr_queue_ptr 0
		.amdhsa_user_sgpr_kernarg_segment_ptr 1
		.amdhsa_user_sgpr_dispatch_id 0
		.amdhsa_user_sgpr_kernarg_preload_length 0
		.amdhsa_user_sgpr_kernarg_preload_offset 0
		.amdhsa_user_sgpr_private_segment_size 0
		.amdhsa_wavefront_size32 1
		.amdhsa_uses_dynamic_stack 0
		.amdhsa_enable_private_segment 0
		.amdhsa_system_sgpr_workgroup_id_x 1
		.amdhsa_system_sgpr_workgroup_id_y 1
		.amdhsa_system_sgpr_workgroup_id_z 1
		.amdhsa_system_sgpr_workgroup_info 0
		.amdhsa_system_vgpr_workitem_id 0
		.amdhsa_next_free_vgpr 18
		.amdhsa_next_free_sgpr 22
		.amdhsa_named_barrier_count 0
		.amdhsa_reserve_vcc 1
		.amdhsa_float_round_mode_32 0
		.amdhsa_float_round_mode_16_64 0
		.amdhsa_float_denorm_mode_32 3
		.amdhsa_float_denorm_mode_16_64 3
		.amdhsa_fp16_overflow 0
		.amdhsa_memory_ordered 1
		.amdhsa_forward_progress 1
		.amdhsa_inst_pref_size 10
		.amdhsa_round_robin_scheduling 0
		.amdhsa_exception_fp_ieee_invalid_op 0
		.amdhsa_exception_fp_denorm_src 0
		.amdhsa_exception_fp_ieee_div_zero 0
		.amdhsa_exception_fp_ieee_overflow 0
		.amdhsa_exception_fp_ieee_underflow 0
		.amdhsa_exception_fp_ieee_inexact 0
		.amdhsa_exception_int_div_zero 0
	.end_amdhsa_kernel
	.section	.text._ZN2at6native12_GLOBAL__N_132replication_pad_forward_kernel2dIiEEvN5torch10headeronly6detail27GenericPackedTensorAccessorINS5_14TensorAccessorIN3c108ArrayRefIlEEKT_Lm3ENS4_16DefaultPtrTraitsElEENS_6detail16IndexBoundsCheckILm4ElEESC_Lm4ESD_lEENS6_INS7_ISA_SB_Lm3ESD_lEESH_SB_Lm4ESD_lEEiiii,"axG",@progbits,_ZN2at6native12_GLOBAL__N_132replication_pad_forward_kernel2dIiEEvN5torch10headeronly6detail27GenericPackedTensorAccessorINS5_14TensorAccessorIN3c108ArrayRefIlEEKT_Lm3ENS4_16DefaultPtrTraitsElEENS_6detail16IndexBoundsCheckILm4ElEESC_Lm4ESD_lEENS6_INS7_ISA_SB_Lm3ESD_lEESH_SB_Lm4ESD_lEEiiii,comdat
.Lfunc_end31:
	.size	_ZN2at6native12_GLOBAL__N_132replication_pad_forward_kernel2dIiEEvN5torch10headeronly6detail27GenericPackedTensorAccessorINS5_14TensorAccessorIN3c108ArrayRefIlEEKT_Lm3ENS4_16DefaultPtrTraitsElEENS_6detail16IndexBoundsCheckILm4ElEESC_Lm4ESD_lEENS6_INS7_ISA_SB_Lm3ESD_lEESH_SB_Lm4ESD_lEEiiii, .Lfunc_end31-_ZN2at6native12_GLOBAL__N_132replication_pad_forward_kernel2dIiEEvN5torch10headeronly6detail27GenericPackedTensorAccessorINS5_14TensorAccessorIN3c108ArrayRefIlEEKT_Lm3ENS4_16DefaultPtrTraitsElEENS_6detail16IndexBoundsCheckILm4ElEESC_Lm4ESD_lEENS6_INS7_ISA_SB_Lm3ESD_lEESH_SB_Lm4ESD_lEEiiii
                                        ; -- End function
	.set _ZN2at6native12_GLOBAL__N_132replication_pad_forward_kernel2dIiEEvN5torch10headeronly6detail27GenericPackedTensorAccessorINS5_14TensorAccessorIN3c108ArrayRefIlEEKT_Lm3ENS4_16DefaultPtrTraitsElEENS_6detail16IndexBoundsCheckILm4ElEESC_Lm4ESD_lEENS6_INS7_ISA_SB_Lm3ESD_lEESH_SB_Lm4ESD_lEEiiii.num_vgpr, 18
	.set _ZN2at6native12_GLOBAL__N_132replication_pad_forward_kernel2dIiEEvN5torch10headeronly6detail27GenericPackedTensorAccessorINS5_14TensorAccessorIN3c108ArrayRefIlEEKT_Lm3ENS4_16DefaultPtrTraitsElEENS_6detail16IndexBoundsCheckILm4ElEESC_Lm4ESD_lEENS6_INS7_ISA_SB_Lm3ESD_lEESH_SB_Lm4ESD_lEEiiii.num_agpr, 0
	.set _ZN2at6native12_GLOBAL__N_132replication_pad_forward_kernel2dIiEEvN5torch10headeronly6detail27GenericPackedTensorAccessorINS5_14TensorAccessorIN3c108ArrayRefIlEEKT_Lm3ENS4_16DefaultPtrTraitsElEENS_6detail16IndexBoundsCheckILm4ElEESC_Lm4ESD_lEENS6_INS7_ISA_SB_Lm3ESD_lEESH_SB_Lm4ESD_lEEiiii.numbered_sgpr, 22
	.set _ZN2at6native12_GLOBAL__N_132replication_pad_forward_kernel2dIiEEvN5torch10headeronly6detail27GenericPackedTensorAccessorINS5_14TensorAccessorIN3c108ArrayRefIlEEKT_Lm3ENS4_16DefaultPtrTraitsElEENS_6detail16IndexBoundsCheckILm4ElEESC_Lm4ESD_lEENS6_INS7_ISA_SB_Lm3ESD_lEESH_SB_Lm4ESD_lEEiiii.num_named_barrier, 0
	.set _ZN2at6native12_GLOBAL__N_132replication_pad_forward_kernel2dIiEEvN5torch10headeronly6detail27GenericPackedTensorAccessorINS5_14TensorAccessorIN3c108ArrayRefIlEEKT_Lm3ENS4_16DefaultPtrTraitsElEENS_6detail16IndexBoundsCheckILm4ElEESC_Lm4ESD_lEENS6_INS7_ISA_SB_Lm3ESD_lEESH_SB_Lm4ESD_lEEiiii.private_seg_size, 0
	.set _ZN2at6native12_GLOBAL__N_132replication_pad_forward_kernel2dIiEEvN5torch10headeronly6detail27GenericPackedTensorAccessorINS5_14TensorAccessorIN3c108ArrayRefIlEEKT_Lm3ENS4_16DefaultPtrTraitsElEENS_6detail16IndexBoundsCheckILm4ElEESC_Lm4ESD_lEENS6_INS7_ISA_SB_Lm3ESD_lEESH_SB_Lm4ESD_lEEiiii.uses_vcc, 1
	.set _ZN2at6native12_GLOBAL__N_132replication_pad_forward_kernel2dIiEEvN5torch10headeronly6detail27GenericPackedTensorAccessorINS5_14TensorAccessorIN3c108ArrayRefIlEEKT_Lm3ENS4_16DefaultPtrTraitsElEENS_6detail16IndexBoundsCheckILm4ElEESC_Lm4ESD_lEENS6_INS7_ISA_SB_Lm3ESD_lEESH_SB_Lm4ESD_lEEiiii.uses_flat_scratch, 0
	.set _ZN2at6native12_GLOBAL__N_132replication_pad_forward_kernel2dIiEEvN5torch10headeronly6detail27GenericPackedTensorAccessorINS5_14TensorAccessorIN3c108ArrayRefIlEEKT_Lm3ENS4_16DefaultPtrTraitsElEENS_6detail16IndexBoundsCheckILm4ElEESC_Lm4ESD_lEENS6_INS7_ISA_SB_Lm3ESD_lEESH_SB_Lm4ESD_lEEiiii.has_dyn_sized_stack, 0
	.set _ZN2at6native12_GLOBAL__N_132replication_pad_forward_kernel2dIiEEvN5torch10headeronly6detail27GenericPackedTensorAccessorINS5_14TensorAccessorIN3c108ArrayRefIlEEKT_Lm3ENS4_16DefaultPtrTraitsElEENS_6detail16IndexBoundsCheckILm4ElEESC_Lm4ESD_lEENS6_INS7_ISA_SB_Lm3ESD_lEESH_SB_Lm4ESD_lEEiiii.has_recursion, 0
	.set _ZN2at6native12_GLOBAL__N_132replication_pad_forward_kernel2dIiEEvN5torch10headeronly6detail27GenericPackedTensorAccessorINS5_14TensorAccessorIN3c108ArrayRefIlEEKT_Lm3ENS4_16DefaultPtrTraitsElEENS_6detail16IndexBoundsCheckILm4ElEESC_Lm4ESD_lEENS6_INS7_ISA_SB_Lm3ESD_lEESH_SB_Lm4ESD_lEEiiii.has_indirect_call, 0
	.section	.AMDGPU.csdata,"",@progbits
; Kernel info:
; codeLenInByte = 1268
; TotalNumSgprs: 24
; NumVgprs: 18
; ScratchSize: 0
; MemoryBound: 0
; FloatMode: 240
; IeeeMode: 1
; LDSByteSize: 0 bytes/workgroup (compile time only)
; SGPRBlocks: 0
; VGPRBlocks: 1
; NumSGPRsForWavesPerEU: 24
; NumVGPRsForWavesPerEU: 18
; NamedBarCnt: 0
; Occupancy: 16
; WaveLimiterHint : 1
; COMPUTE_PGM_RSRC2:SCRATCH_EN: 0
; COMPUTE_PGM_RSRC2:USER_SGPR: 2
; COMPUTE_PGM_RSRC2:TRAP_HANDLER: 0
; COMPUTE_PGM_RSRC2:TGID_X_EN: 1
; COMPUTE_PGM_RSRC2:TGID_Y_EN: 1
; COMPUTE_PGM_RSRC2:TGID_Z_EN: 1
; COMPUTE_PGM_RSRC2:TIDIG_COMP_CNT: 0
	.section	.text._ZN2at6native12_GLOBAL__N_132replication_pad_forward_kernel2dIlEEvN5torch10headeronly6detail27GenericPackedTensorAccessorINS5_14TensorAccessorIN3c108ArrayRefIlEEKT_Lm3ENS4_16DefaultPtrTraitsElEENS_6detail16IndexBoundsCheckILm4ElEESC_Lm4ESD_lEENS6_INS7_ISA_SB_Lm3ESD_lEESH_SB_Lm4ESD_lEEiiii,"axG",@progbits,_ZN2at6native12_GLOBAL__N_132replication_pad_forward_kernel2dIlEEvN5torch10headeronly6detail27GenericPackedTensorAccessorINS5_14TensorAccessorIN3c108ArrayRefIlEEKT_Lm3ENS4_16DefaultPtrTraitsElEENS_6detail16IndexBoundsCheckILm4ElEESC_Lm4ESD_lEENS6_INS7_ISA_SB_Lm3ESD_lEESH_SB_Lm4ESD_lEEiiii,comdat
	.globl	_ZN2at6native12_GLOBAL__N_132replication_pad_forward_kernel2dIlEEvN5torch10headeronly6detail27GenericPackedTensorAccessorINS5_14TensorAccessorIN3c108ArrayRefIlEEKT_Lm3ENS4_16DefaultPtrTraitsElEENS_6detail16IndexBoundsCheckILm4ElEESC_Lm4ESD_lEENS6_INS7_ISA_SB_Lm3ESD_lEESH_SB_Lm4ESD_lEEiiii ; -- Begin function _ZN2at6native12_GLOBAL__N_132replication_pad_forward_kernel2dIlEEvN5torch10headeronly6detail27GenericPackedTensorAccessorINS5_14TensorAccessorIN3c108ArrayRefIlEEKT_Lm3ENS4_16DefaultPtrTraitsElEENS_6detail16IndexBoundsCheckILm4ElEESC_Lm4ESD_lEENS6_INS7_ISA_SB_Lm3ESD_lEESH_SB_Lm4ESD_lEEiiii
	.p2align	8
	.type	_ZN2at6native12_GLOBAL__N_132replication_pad_forward_kernel2dIlEEvN5torch10headeronly6detail27GenericPackedTensorAccessorINS5_14TensorAccessorIN3c108ArrayRefIlEEKT_Lm3ENS4_16DefaultPtrTraitsElEENS_6detail16IndexBoundsCheckILm4ElEESC_Lm4ESD_lEENS6_INS7_ISA_SB_Lm3ESD_lEESH_SB_Lm4ESD_lEEiiii,@function
_ZN2at6native12_GLOBAL__N_132replication_pad_forward_kernel2dIlEEvN5torch10headeronly6detail27GenericPackedTensorAccessorINS5_14TensorAccessorIN3c108ArrayRefIlEEKT_Lm3ENS4_16DefaultPtrTraitsElEENS_6detail16IndexBoundsCheckILm4ElEESC_Lm4ESD_lEENS6_INS7_ISA_SB_Lm3ESD_lEESH_SB_Lm4ESD_lEEiiii: ; @_ZN2at6native12_GLOBAL__N_132replication_pad_forward_kernel2dIlEEvN5torch10headeronly6detail27GenericPackedTensorAccessorINS5_14TensorAccessorIN3c108ArrayRefIlEEKT_Lm3ENS4_16DefaultPtrTraitsElEENS_6detail16IndexBoundsCheckILm4ElEESC_Lm4ESD_lEENS6_INS7_ISA_SB_Lm3ESD_lEESH_SB_Lm4ESD_lEEiiii
; %bb.0:
	s_load_b32 s2, s[0:1], 0xac
	s_bfe_u32 s4, ttmp6, 0x4000c
	s_and_b32 s8, ttmp6, 15
	s_add_co_i32 s9, s4, 1
	s_getreg_b32 s3, hwreg(HW_REG_IB_STS2, 6, 4)
	s_mul_i32 s9, ttmp9, s9
	s_load_b128 s[4:7], s[0:1], 0x60
	s_add_co_i32 s8, s8, s9
	s_wait_kmcnt 0x0
	s_and_b32 s2, s2, 0xffff
	s_cmp_eq_u32 s3, 0
	s_cselect_b32 s8, ttmp9, s8
	s_delay_alu instid0(SALU_CYCLE_1) | instskip(SKIP_2) | instid1(VALU_DEP_1)
	v_mad_u32 v0, s8, s2, v0
	s_mul_u64 s[4:5], s[6:7], s[4:5]
	s_mov_b32 s2, exec_lo
	v_ashrrev_i32_e32 v1, 31, v0
	s_delay_alu instid0(VALU_DEP_1)
	v_cmpx_gt_i64_e64 s[4:5], v[0:1]
	s_cbranch_execz .LBB32_6
; %bb.1:
	v_dual_mov_b32 v4, 0 :: v_dual_bitop2_b32 v5, s7, v1 bitop3:0x54
                                        ; implicit-def: $vgpr2_vgpr3
	s_mov_b32 s2, exec_lo
	s_delay_alu instid0(VALU_DEP_1)
	v_cmpx_ne_u64_e32 0, v[4:5]
	s_xor_b32 s10, exec_lo, s2
	s_cbranch_execz .LBB32_3
; %bb.2:
	s_ashr_i32 s4, s7, 31
	s_mov_b32 s19, 0
	s_mov_b32 s5, s4
	v_dual_mov_b32 v9, v4 :: v_dual_ashrrev_i32 v2, 31, v1
	s_add_nc_u64 s[8:9], s[6:7], s[4:5]
	v_mov_b32_e32 v11, v4
	s_xor_b64 s[8:9], s[8:9], s[4:5]
	s_delay_alu instid0(VALU_DEP_2)
	v_mov_b32_e32 v3, v2
	s_cvt_f32_u32 s2, s8
	s_cvt_f32_u32 s5, s9
	s_sub_nc_u64 s[14:15], 0, s[8:9]
	v_mov_b32_e32 v17, v4
	v_add_nc_u64_e32 v[6:7], v[0:1], v[2:3]
	s_fmamk_f32 s2, s5, 0x4f800000, s2
	v_mov_b32_e32 v5, v4
	s_delay_alu instid0(SALU_CYCLE_2) | instskip(NEXT) | instid1(VALU_DEP_2)
	v_s_rcp_f32 s2, s2
	v_xor_b32_e32 v8, v6, v2
	s_delay_alu instid0(VALU_DEP_3) | instskip(SKIP_1) | instid1(TRANS32_DEP_1)
	v_xor_b32_e32 v10, v7, v2
	v_xor_b32_e32 v2, s4, v2
	s_mul_f32 s2, s2, 0x5f7ffffc
	s_delay_alu instid0(SALU_CYCLE_3) | instskip(NEXT) | instid1(SALU_CYCLE_3)
	s_mul_f32 s5, s2, 0x2f800000
	s_trunc_f32 s5, s5
	s_delay_alu instid0(SALU_CYCLE_3) | instskip(SKIP_1) | instid1(SALU_CYCLE_2)
	s_fmamk_f32 s2, s5, 0xcf800000, s2
	s_cvt_u32_f32 s13, s5
	s_cvt_u32_f32 s12, s2
	s_delay_alu instid0(SALU_CYCLE_3) | instskip(NEXT) | instid1(SALU_CYCLE_1)
	s_mul_u64 s[16:17], s[14:15], s[12:13]
	s_mul_hi_u32 s21, s12, s17
	s_mul_i32 s20, s12, s17
	s_mul_hi_u32 s18, s12, s16
	s_mul_i32 s5, s13, s16
	s_add_nc_u64 s[20:21], s[18:19], s[20:21]
	s_mul_hi_u32 s2, s13, s16
	s_mul_hi_u32 s11, s13, s17
	s_add_co_u32 s5, s20, s5
	s_add_co_ci_u32 s18, s21, s2
	s_mul_i32 s16, s13, s17
	s_add_co_ci_u32 s17, s11, 0
	s_delay_alu instid0(SALU_CYCLE_1) | instskip(NEXT) | instid1(SALU_CYCLE_1)
	s_add_nc_u64 s[16:17], s[18:19], s[16:17]
	s_add_co_u32 s12, s12, s16
	s_cselect_b32 s2, -1, 0
	s_delay_alu instid0(SALU_CYCLE_1) | instskip(SKIP_1) | instid1(SALU_CYCLE_1)
	s_cmp_lg_u32 s2, 0
	s_add_co_ci_u32 s13, s13, s17
	s_mul_u64 s[14:15], s[14:15], s[12:13]
	s_delay_alu instid0(SALU_CYCLE_1)
	s_mul_hi_u32 s17, s12, s15
	s_mul_i32 s16, s12, s15
	s_mul_hi_u32 s18, s12, s14
	s_mul_i32 s5, s13, s14
	s_add_nc_u64 s[16:17], s[18:19], s[16:17]
	s_mul_hi_u32 s2, s13, s14
	s_mul_hi_u32 s11, s13, s15
	s_add_co_u32 s5, s16, s5
	s_add_co_ci_u32 s18, s17, s2
	s_mul_i32 s14, s13, s15
	s_add_co_ci_u32 s15, s11, 0
	s_delay_alu instid0(SALU_CYCLE_1) | instskip(NEXT) | instid1(SALU_CYCLE_1)
	s_add_nc_u64 s[14:15], s[18:19], s[14:15]
	s_add_co_u32 s2, s12, s14
	s_cselect_b32 s5, -1, 0
	v_mul_hi_u32 v16, v8, s2
	s_cmp_lg_u32 s5, 0
	s_add_co_ci_u32 s18, s13, s15
	s_mov_b64 s[12:13], 0xffffffff
	v_mul_u64_e32 v[12:13], s[18:19], v[8:9]
	s_and_b64 s[12:13], s[2:3], s[12:13]
	v_mul_u64_e32 v[14:15], s[18:19], v[10:11]
	v_mul_u64_e32 v[6:7], s[12:13], v[10:11]
	s_delay_alu instid0(VALU_DEP_3) | instskip(NEXT) | instid1(VALU_DEP_1)
	v_add_nc_u64_e32 v[12:13], v[16:17], v[12:13]
	v_add_co_u32 v3, vcc_lo, v12, v6
	s_delay_alu instid0(VALU_DEP_2) | instskip(SKIP_1) | instid1(VALU_DEP_1)
	v_add_co_ci_u32_e32 v4, vcc_lo, v13, v7, vcc_lo
	v_add_co_ci_u32_e32 v15, vcc_lo, 0, v15, vcc_lo
	v_add_nc_u64_e32 v[4:5], v[4:5], v[14:15]
	s_delay_alu instid0(VALU_DEP_1) | instskip(NEXT) | instid1(VALU_DEP_1)
	v_mul_u64_e32 v[6:7], s[8:9], v[4:5]
	v_sub_nc_u32_e32 v3, v10, v7
	s_delay_alu instid0(VALU_DEP_2) | instskip(NEXT) | instid1(VALU_DEP_1)
	v_sub_co_u32 v6, vcc_lo, v8, v6
	v_sub_co_ci_u32_e64 v10, null, v10, v7, vcc_lo
	s_delay_alu instid0(VALU_DEP_3) | instskip(NEXT) | instid1(VALU_DEP_3)
	v_subrev_co_ci_u32_e64 v3, null, s9, v3, vcc_lo
	v_sub_co_u32 v8, s2, v6, s8
	s_delay_alu instid0(VALU_DEP_1) | instskip(NEXT) | instid1(VALU_DEP_2)
	v_subrev_co_ci_u32_e64 v3, null, 0, v3, s2
	v_cmp_le_u32_e32 vcc_lo, s8, v8
	v_cndmask_b32_e64 v7, 0, -1, vcc_lo
	s_delay_alu instid0(VALU_DEP_3)
	v_cmp_le_u32_e32 vcc_lo, s9, v3
	v_cndmask_b32_e64 v8, 0, -1, vcc_lo
	v_cmp_le_u32_e32 vcc_lo, s8, v6
	v_cndmask_b32_e64 v11, 0, -1, vcc_lo
	v_cmp_le_u32_e32 vcc_lo, s9, v10
	v_cndmask_b32_e64 v12, 0, -1, vcc_lo
	v_cmp_eq_u32_e32 vcc_lo, s9, v3
	v_cndmask_b32_e32 v3, v8, v7, vcc_lo
	v_cmp_eq_u32_e32 vcc_lo, s9, v10
	v_add_nc_u64_e32 v[6:7], 2, v[4:5]
	v_add_nc_u64_e32 v[8:9], 1, v[4:5]
	v_cndmask_b32_e32 v10, v12, v11, vcc_lo
	v_cmp_ne_u32_e32 vcc_lo, 0, v3
	s_delay_alu instid0(VALU_DEP_2) | instskip(NEXT) | instid1(VALU_DEP_4)
	v_cmp_ne_u32_e64 s2, 0, v10
	v_dual_cndmask_b32 v6, v8, v6 :: v_dual_cndmask_b32 v3, v9, v7
	s_delay_alu instid0(VALU_DEP_1) | instskip(NEXT) | instid1(VALU_DEP_1)
	v_dual_cndmask_b32 v4, v4, v6, s2 :: v_dual_cndmask_b32 v5, v5, v3, s2
	v_dual_mov_b32 v3, v2 :: v_dual_bitop2_b32 v4, v4, v2 bitop3:0x14
	s_delay_alu instid0(VALU_DEP_2) | instskip(NEXT) | instid1(VALU_DEP_1)
	v_xor_b32_e32 v5, v5, v2
	v_sub_nc_u64_e32 v[2:3], v[4:5], v[2:3]
.LBB32_3:
	s_and_not1_saveexec_b32 s2, s10
	s_cbranch_execz .LBB32_5
; %bb.4:
	v_cvt_f32_u32_e32 v2, s6
	s_sub_co_i32 s4, 0, s6
	s_delay_alu instid0(VALU_DEP_1) | instskip(SKIP_1) | instid1(TRANS32_DEP_1)
	v_rcp_iflag_f32_e32 v2, v2
	v_nop
	v_mul_f32_e32 v2, 0x4f7ffffe, v2
	s_delay_alu instid0(VALU_DEP_1) | instskip(NEXT) | instid1(VALU_DEP_1)
	v_cvt_u32_f32_e32 v2, v2
	v_mul_lo_u32 v3, s4, v2
	s_delay_alu instid0(VALU_DEP_1) | instskip(NEXT) | instid1(VALU_DEP_1)
	v_mul_hi_u32 v3, v2, v3
	v_add_nc_u32_e32 v2, v2, v3
	s_delay_alu instid0(VALU_DEP_1) | instskip(NEXT) | instid1(VALU_DEP_1)
	v_mul_hi_u32 v2, v0, v2
	v_mul_lo_u32 v3, v2, s6
	s_delay_alu instid0(VALU_DEP_1) | instskip(NEXT) | instid1(VALU_DEP_1)
	v_dual_add_nc_u32 v4, 1, v2 :: v_dual_sub_nc_u32 v3, v0, v3
	v_subrev_nc_u32_e32 v5, s6, v3
	v_cmp_le_u32_e32 vcc_lo, s6, v3
	s_delay_alu instid0(VALU_DEP_2) | instskip(NEXT) | instid1(VALU_DEP_1)
	v_dual_cndmask_b32 v3, v3, v5 :: v_dual_cndmask_b32 v2, v2, v4
	v_cmp_le_u32_e32 vcc_lo, s6, v3
	s_delay_alu instid0(VALU_DEP_2) | instskip(NEXT) | instid1(VALU_DEP_1)
	v_dual_mov_b32 v3, 0 :: v_dual_add_nc_u32 v4, 1, v2
	v_cndmask_b32_e32 v2, v2, v4, vcc_lo
.LBB32_5:
	s_or_b32 exec_lo, exec_lo, s2
	s_delay_alu instid0(VALU_DEP_1)
	v_mul_u64_e32 v[4:5], s[6:7], v[2:3]
	s_clause 0x1
	s_load_b128 s[12:15], s[0:1], 0x90
	s_load_b256 s[4:11], s[0:1], 0x18
	s_wait_kmcnt 0x0
	s_bfe_u32 s5, ttmp6, 0x40014
	s_bfe_u32 s16, ttmp6, 0x40010
	s_lshr_b32 s2, ttmp7, 16
	s_and_b32 s20, ttmp7, 0xffff
	s_add_co_i32 s5, s5, 1
	s_add_co_i32 s16, s16, 1
	s_bfe_u32 s7, ttmp6, 0x40008
	s_bfe_u32 s17, ttmp6, 0x40004
	s_mul_i32 s5, s2, s5
	s_mul_i32 s16, s20, s16
	s_add_co_i32 s7, s7, s5
	s_add_co_i32 s5, s17, s16
	s_cmp_eq_u32 s3, 0
	s_load_b128 s[16:19], s[0:1], 0x38
	s_cselect_b32 s5, s20, s5
	s_cselect_b32 s7, s2, s7
	s_sub_co_i32 s3, 0, s12
	s_add_co_i32 s4, s12, s4
	s_max_i32 s3, s3, 0
	s_add_co_i32 s4, s4, -1
	s_add_co_i32 s6, s13, s6
	v_maxmin_i32 v3, s12, v2, s4
	s_max_i32 s4, s12, 0
	s_add_co_i32 s6, s6, -1
	s_sub_co_i32 s3, s3, s4
	s_sub_co_i32 s2, 0, s13
	s_add_co_i32 s12, s15, s7
	s_max_i32 s2, s2, 0
	v_sub_nc_u64_e32 v[0:1], v[0:1], v[4:5]
	v_add_nc_u32_e32 v4, s3, v3
	s_max_i32 s3, s13, 0
	s_add_co_i32 s14, s14, s5
	s_sub_co_i32 s2, s2, s3
	s_ashr_i32 s15, s14, 31
	s_delay_alu instid0(VALU_DEP_2) | instskip(SKIP_3) | instid1(SALU_CYCLE_1)
	v_maxmin_i32 v3, s13, v0, s6
	s_ashr_i32 s13, s12, 31
	s_mul_u64 s[6:7], s[10:11], s[14:15]
	s_mul_u64 s[4:5], s[8:9], s[12:13]
	s_lshl_b64 s[4:5], s[4:5], 3
	v_dual_add_nc_u32 v6, s2, v3 :: v_dual_ashrrev_i32 v5, 31, v4
	s_load_b64 s[2:3], s[0:1], 0x0
	v_ashrrev_i32_e32 v3, 31, v2
	s_delay_alu instid0(VALU_DEP_2) | instskip(SKIP_2) | instid1(VALU_DEP_2)
	v_ashrrev_i32_e32 v7, 31, v6
	s_wait_kmcnt 0x0
	v_mul_u64_e32 v[4:5], s[16:17], v[4:5]
	v_mul_u64_e32 v[6:7], s[18:19], v[6:7]
	s_add_nc_u64 s[2:3], s[2:3], s[4:5]
	s_lshl_b64 s[4:5], s[6:7], 3
	s_delay_alu instid0(SALU_CYCLE_1) | instskip(SKIP_1) | instid1(VALU_DEP_2)
	s_add_nc_u64 s[2:3], s[2:3], s[4:5]
	s_load_b256 s[4:11], s[0:1], 0x70
	v_lshl_add_u64 v[4:5], v[4:5], 3, s[2:3]
	s_wait_xcnt 0x0
	s_load_b64 s[0:1], s[0:1], 0x48
	s_delay_alu instid0(VALU_DEP_1)
	v_lshl_add_u64 v[4:5], v[6:7], 3, v[4:5]
	s_wait_kmcnt 0x0
	v_mul_u64_e32 v[2:3], s[8:9], v[2:3]
	v_mul_u64_e32 v[0:1], s[10:11], v[0:1]
	global_load_b64 v[4:5], v[4:5], off
	s_mul_u64 s[2:3], s[4:5], s[12:13]
	s_mul_u64 s[4:5], s[6:7], s[14:15]
	s_lshl_b64 s[2:3], s[2:3], 3
	s_delay_alu instid0(SALU_CYCLE_1) | instskip(SKIP_1) | instid1(SALU_CYCLE_1)
	s_add_nc_u64 s[0:1], s[0:1], s[2:3]
	s_lshl_b64 s[2:3], s[4:5], 3
	s_add_nc_u64 s[0:1], s[0:1], s[2:3]
	s_delay_alu instid0(SALU_CYCLE_1) | instskip(NEXT) | instid1(VALU_DEP_1)
	v_lshl_add_u64 v[2:3], v[2:3], 3, s[0:1]
	v_lshl_add_u64 v[0:1], v[0:1], 3, v[2:3]
	s_wait_loadcnt 0x0
	global_store_b64 v[0:1], v[4:5], off
.LBB32_6:
	s_endpgm
	.section	.rodata,"a",@progbits
	.p2align	6, 0x0
	.amdhsa_kernel _ZN2at6native12_GLOBAL__N_132replication_pad_forward_kernel2dIlEEvN5torch10headeronly6detail27GenericPackedTensorAccessorINS5_14TensorAccessorIN3c108ArrayRefIlEEKT_Lm3ENS4_16DefaultPtrTraitsElEENS_6detail16IndexBoundsCheckILm4ElEESC_Lm4ESD_lEENS6_INS7_ISA_SB_Lm3ESD_lEESH_SB_Lm4ESD_lEEiiii
		.amdhsa_group_segment_fixed_size 0
		.amdhsa_private_segment_fixed_size 0
		.amdhsa_kernarg_size 416
		.amdhsa_user_sgpr_count 2
		.amdhsa_user_sgpr_dispatch_ptr 0
		.amdhsa_user_sgpr_queue_ptr 0
		.amdhsa_user_sgpr_kernarg_segment_ptr 1
		.amdhsa_user_sgpr_dispatch_id 0
		.amdhsa_user_sgpr_kernarg_preload_length 0
		.amdhsa_user_sgpr_kernarg_preload_offset 0
		.amdhsa_user_sgpr_private_segment_size 0
		.amdhsa_wavefront_size32 1
		.amdhsa_uses_dynamic_stack 0
		.amdhsa_enable_private_segment 0
		.amdhsa_system_sgpr_workgroup_id_x 1
		.amdhsa_system_sgpr_workgroup_id_y 1
		.amdhsa_system_sgpr_workgroup_id_z 1
		.amdhsa_system_sgpr_workgroup_info 0
		.amdhsa_system_vgpr_workitem_id 0
		.amdhsa_next_free_vgpr 18
		.amdhsa_next_free_sgpr 22
		.amdhsa_named_barrier_count 0
		.amdhsa_reserve_vcc 1
		.amdhsa_float_round_mode_32 0
		.amdhsa_float_round_mode_16_64 0
		.amdhsa_float_denorm_mode_32 3
		.amdhsa_float_denorm_mode_16_64 3
		.amdhsa_fp16_overflow 0
		.amdhsa_memory_ordered 1
		.amdhsa_forward_progress 1
		.amdhsa_inst_pref_size 10
		.amdhsa_round_robin_scheduling 0
		.amdhsa_exception_fp_ieee_invalid_op 0
		.amdhsa_exception_fp_denorm_src 0
		.amdhsa_exception_fp_ieee_div_zero 0
		.amdhsa_exception_fp_ieee_overflow 0
		.amdhsa_exception_fp_ieee_underflow 0
		.amdhsa_exception_fp_ieee_inexact 0
		.amdhsa_exception_int_div_zero 0
	.end_amdhsa_kernel
	.section	.text._ZN2at6native12_GLOBAL__N_132replication_pad_forward_kernel2dIlEEvN5torch10headeronly6detail27GenericPackedTensorAccessorINS5_14TensorAccessorIN3c108ArrayRefIlEEKT_Lm3ENS4_16DefaultPtrTraitsElEENS_6detail16IndexBoundsCheckILm4ElEESC_Lm4ESD_lEENS6_INS7_ISA_SB_Lm3ESD_lEESH_SB_Lm4ESD_lEEiiii,"axG",@progbits,_ZN2at6native12_GLOBAL__N_132replication_pad_forward_kernel2dIlEEvN5torch10headeronly6detail27GenericPackedTensorAccessorINS5_14TensorAccessorIN3c108ArrayRefIlEEKT_Lm3ENS4_16DefaultPtrTraitsElEENS_6detail16IndexBoundsCheckILm4ElEESC_Lm4ESD_lEENS6_INS7_ISA_SB_Lm3ESD_lEESH_SB_Lm4ESD_lEEiiii,comdat
.Lfunc_end32:
	.size	_ZN2at6native12_GLOBAL__N_132replication_pad_forward_kernel2dIlEEvN5torch10headeronly6detail27GenericPackedTensorAccessorINS5_14TensorAccessorIN3c108ArrayRefIlEEKT_Lm3ENS4_16DefaultPtrTraitsElEENS_6detail16IndexBoundsCheckILm4ElEESC_Lm4ESD_lEENS6_INS7_ISA_SB_Lm3ESD_lEESH_SB_Lm4ESD_lEEiiii, .Lfunc_end32-_ZN2at6native12_GLOBAL__N_132replication_pad_forward_kernel2dIlEEvN5torch10headeronly6detail27GenericPackedTensorAccessorINS5_14TensorAccessorIN3c108ArrayRefIlEEKT_Lm3ENS4_16DefaultPtrTraitsElEENS_6detail16IndexBoundsCheckILm4ElEESC_Lm4ESD_lEENS6_INS7_ISA_SB_Lm3ESD_lEESH_SB_Lm4ESD_lEEiiii
                                        ; -- End function
	.set _ZN2at6native12_GLOBAL__N_132replication_pad_forward_kernel2dIlEEvN5torch10headeronly6detail27GenericPackedTensorAccessorINS5_14TensorAccessorIN3c108ArrayRefIlEEKT_Lm3ENS4_16DefaultPtrTraitsElEENS_6detail16IndexBoundsCheckILm4ElEESC_Lm4ESD_lEENS6_INS7_ISA_SB_Lm3ESD_lEESH_SB_Lm4ESD_lEEiiii.num_vgpr, 18
	.set _ZN2at6native12_GLOBAL__N_132replication_pad_forward_kernel2dIlEEvN5torch10headeronly6detail27GenericPackedTensorAccessorINS5_14TensorAccessorIN3c108ArrayRefIlEEKT_Lm3ENS4_16DefaultPtrTraitsElEENS_6detail16IndexBoundsCheckILm4ElEESC_Lm4ESD_lEENS6_INS7_ISA_SB_Lm3ESD_lEESH_SB_Lm4ESD_lEEiiii.num_agpr, 0
	.set _ZN2at6native12_GLOBAL__N_132replication_pad_forward_kernel2dIlEEvN5torch10headeronly6detail27GenericPackedTensorAccessorINS5_14TensorAccessorIN3c108ArrayRefIlEEKT_Lm3ENS4_16DefaultPtrTraitsElEENS_6detail16IndexBoundsCheckILm4ElEESC_Lm4ESD_lEENS6_INS7_ISA_SB_Lm3ESD_lEESH_SB_Lm4ESD_lEEiiii.numbered_sgpr, 22
	.set _ZN2at6native12_GLOBAL__N_132replication_pad_forward_kernel2dIlEEvN5torch10headeronly6detail27GenericPackedTensorAccessorINS5_14TensorAccessorIN3c108ArrayRefIlEEKT_Lm3ENS4_16DefaultPtrTraitsElEENS_6detail16IndexBoundsCheckILm4ElEESC_Lm4ESD_lEENS6_INS7_ISA_SB_Lm3ESD_lEESH_SB_Lm4ESD_lEEiiii.num_named_barrier, 0
	.set _ZN2at6native12_GLOBAL__N_132replication_pad_forward_kernel2dIlEEvN5torch10headeronly6detail27GenericPackedTensorAccessorINS5_14TensorAccessorIN3c108ArrayRefIlEEKT_Lm3ENS4_16DefaultPtrTraitsElEENS_6detail16IndexBoundsCheckILm4ElEESC_Lm4ESD_lEENS6_INS7_ISA_SB_Lm3ESD_lEESH_SB_Lm4ESD_lEEiiii.private_seg_size, 0
	.set _ZN2at6native12_GLOBAL__N_132replication_pad_forward_kernel2dIlEEvN5torch10headeronly6detail27GenericPackedTensorAccessorINS5_14TensorAccessorIN3c108ArrayRefIlEEKT_Lm3ENS4_16DefaultPtrTraitsElEENS_6detail16IndexBoundsCheckILm4ElEESC_Lm4ESD_lEENS6_INS7_ISA_SB_Lm3ESD_lEESH_SB_Lm4ESD_lEEiiii.uses_vcc, 1
	.set _ZN2at6native12_GLOBAL__N_132replication_pad_forward_kernel2dIlEEvN5torch10headeronly6detail27GenericPackedTensorAccessorINS5_14TensorAccessorIN3c108ArrayRefIlEEKT_Lm3ENS4_16DefaultPtrTraitsElEENS_6detail16IndexBoundsCheckILm4ElEESC_Lm4ESD_lEENS6_INS7_ISA_SB_Lm3ESD_lEESH_SB_Lm4ESD_lEEiiii.uses_flat_scratch, 0
	.set _ZN2at6native12_GLOBAL__N_132replication_pad_forward_kernel2dIlEEvN5torch10headeronly6detail27GenericPackedTensorAccessorINS5_14TensorAccessorIN3c108ArrayRefIlEEKT_Lm3ENS4_16DefaultPtrTraitsElEENS_6detail16IndexBoundsCheckILm4ElEESC_Lm4ESD_lEENS6_INS7_ISA_SB_Lm3ESD_lEESH_SB_Lm4ESD_lEEiiii.has_dyn_sized_stack, 0
	.set _ZN2at6native12_GLOBAL__N_132replication_pad_forward_kernel2dIlEEvN5torch10headeronly6detail27GenericPackedTensorAccessorINS5_14TensorAccessorIN3c108ArrayRefIlEEKT_Lm3ENS4_16DefaultPtrTraitsElEENS_6detail16IndexBoundsCheckILm4ElEESC_Lm4ESD_lEENS6_INS7_ISA_SB_Lm3ESD_lEESH_SB_Lm4ESD_lEEiiii.has_recursion, 0
	.set _ZN2at6native12_GLOBAL__N_132replication_pad_forward_kernel2dIlEEvN5torch10headeronly6detail27GenericPackedTensorAccessorINS5_14TensorAccessorIN3c108ArrayRefIlEEKT_Lm3ENS4_16DefaultPtrTraitsElEENS_6detail16IndexBoundsCheckILm4ElEESC_Lm4ESD_lEENS6_INS7_ISA_SB_Lm3ESD_lEESH_SB_Lm4ESD_lEEiiii.has_indirect_call, 0
	.section	.AMDGPU.csdata,"",@progbits
; Kernel info:
; codeLenInByte = 1268
; TotalNumSgprs: 24
; NumVgprs: 18
; ScratchSize: 0
; MemoryBound: 0
; FloatMode: 240
; IeeeMode: 1
; LDSByteSize: 0 bytes/workgroup (compile time only)
; SGPRBlocks: 0
; VGPRBlocks: 1
; NumSGPRsForWavesPerEU: 24
; NumVGPRsForWavesPerEU: 18
; NamedBarCnt: 0
; Occupancy: 16
; WaveLimiterHint : 1
; COMPUTE_PGM_RSRC2:SCRATCH_EN: 0
; COMPUTE_PGM_RSRC2:USER_SGPR: 2
; COMPUTE_PGM_RSRC2:TRAP_HANDLER: 0
; COMPUTE_PGM_RSRC2:TGID_X_EN: 1
; COMPUTE_PGM_RSRC2:TGID_Y_EN: 1
; COMPUTE_PGM_RSRC2:TGID_Z_EN: 1
; COMPUTE_PGM_RSRC2:TIDIG_COMP_CNT: 0
	.section	.text._ZN2at6native12_GLOBAL__N_132replication_pad_forward_kernel2dIsEEvN5torch10headeronly6detail27GenericPackedTensorAccessorINS5_14TensorAccessorIN3c108ArrayRefIlEEKT_Lm3ENS4_16DefaultPtrTraitsElEENS_6detail16IndexBoundsCheckILm4ElEESC_Lm4ESD_lEENS6_INS7_ISA_SB_Lm3ESD_lEESH_SB_Lm4ESD_lEEiiii,"axG",@progbits,_ZN2at6native12_GLOBAL__N_132replication_pad_forward_kernel2dIsEEvN5torch10headeronly6detail27GenericPackedTensorAccessorINS5_14TensorAccessorIN3c108ArrayRefIlEEKT_Lm3ENS4_16DefaultPtrTraitsElEENS_6detail16IndexBoundsCheckILm4ElEESC_Lm4ESD_lEENS6_INS7_ISA_SB_Lm3ESD_lEESH_SB_Lm4ESD_lEEiiii,comdat
	.globl	_ZN2at6native12_GLOBAL__N_132replication_pad_forward_kernel2dIsEEvN5torch10headeronly6detail27GenericPackedTensorAccessorINS5_14TensorAccessorIN3c108ArrayRefIlEEKT_Lm3ENS4_16DefaultPtrTraitsElEENS_6detail16IndexBoundsCheckILm4ElEESC_Lm4ESD_lEENS6_INS7_ISA_SB_Lm3ESD_lEESH_SB_Lm4ESD_lEEiiii ; -- Begin function _ZN2at6native12_GLOBAL__N_132replication_pad_forward_kernel2dIsEEvN5torch10headeronly6detail27GenericPackedTensorAccessorINS5_14TensorAccessorIN3c108ArrayRefIlEEKT_Lm3ENS4_16DefaultPtrTraitsElEENS_6detail16IndexBoundsCheckILm4ElEESC_Lm4ESD_lEENS6_INS7_ISA_SB_Lm3ESD_lEESH_SB_Lm4ESD_lEEiiii
	.p2align	8
	.type	_ZN2at6native12_GLOBAL__N_132replication_pad_forward_kernel2dIsEEvN5torch10headeronly6detail27GenericPackedTensorAccessorINS5_14TensorAccessorIN3c108ArrayRefIlEEKT_Lm3ENS4_16DefaultPtrTraitsElEENS_6detail16IndexBoundsCheckILm4ElEESC_Lm4ESD_lEENS6_INS7_ISA_SB_Lm3ESD_lEESH_SB_Lm4ESD_lEEiiii,@function
_ZN2at6native12_GLOBAL__N_132replication_pad_forward_kernel2dIsEEvN5torch10headeronly6detail27GenericPackedTensorAccessorINS5_14TensorAccessorIN3c108ArrayRefIlEEKT_Lm3ENS4_16DefaultPtrTraitsElEENS_6detail16IndexBoundsCheckILm4ElEESC_Lm4ESD_lEENS6_INS7_ISA_SB_Lm3ESD_lEESH_SB_Lm4ESD_lEEiiii: ; @_ZN2at6native12_GLOBAL__N_132replication_pad_forward_kernel2dIsEEvN5torch10headeronly6detail27GenericPackedTensorAccessorINS5_14TensorAccessorIN3c108ArrayRefIlEEKT_Lm3ENS4_16DefaultPtrTraitsElEENS_6detail16IndexBoundsCheckILm4ElEESC_Lm4ESD_lEENS6_INS7_ISA_SB_Lm3ESD_lEESH_SB_Lm4ESD_lEEiiii
; %bb.0:
	s_load_b32 s2, s[0:1], 0xac
	s_bfe_u32 s4, ttmp6, 0x4000c
	s_and_b32 s8, ttmp6, 15
	s_add_co_i32 s9, s4, 1
	s_getreg_b32 s3, hwreg(HW_REG_IB_STS2, 6, 4)
	s_mul_i32 s9, ttmp9, s9
	s_load_b128 s[4:7], s[0:1], 0x60
	s_add_co_i32 s8, s8, s9
	s_wait_kmcnt 0x0
	s_and_b32 s2, s2, 0xffff
	s_cmp_eq_u32 s3, 0
	s_cselect_b32 s8, ttmp9, s8
	s_delay_alu instid0(SALU_CYCLE_1) | instskip(SKIP_2) | instid1(VALU_DEP_1)
	v_mad_u32 v0, s8, s2, v0
	s_mul_u64 s[4:5], s[6:7], s[4:5]
	s_mov_b32 s2, exec_lo
	v_ashrrev_i32_e32 v1, 31, v0
	s_delay_alu instid0(VALU_DEP_1)
	v_cmpx_gt_i64_e64 s[4:5], v[0:1]
	s_cbranch_execz .LBB33_6
; %bb.1:
	v_dual_mov_b32 v4, 0 :: v_dual_bitop2_b32 v5, s7, v1 bitop3:0x54
                                        ; implicit-def: $vgpr2_vgpr3
	s_mov_b32 s2, exec_lo
	s_delay_alu instid0(VALU_DEP_1)
	v_cmpx_ne_u64_e32 0, v[4:5]
	s_xor_b32 s10, exec_lo, s2
	s_cbranch_execz .LBB33_3
; %bb.2:
	s_ashr_i32 s4, s7, 31
	s_mov_b32 s19, 0
	s_mov_b32 s5, s4
	v_dual_mov_b32 v9, v4 :: v_dual_ashrrev_i32 v2, 31, v1
	s_add_nc_u64 s[8:9], s[6:7], s[4:5]
	v_mov_b32_e32 v11, v4
	s_xor_b64 s[8:9], s[8:9], s[4:5]
	s_delay_alu instid0(VALU_DEP_2)
	v_mov_b32_e32 v3, v2
	s_cvt_f32_u32 s2, s8
	s_cvt_f32_u32 s5, s9
	s_sub_nc_u64 s[14:15], 0, s[8:9]
	v_mov_b32_e32 v17, v4
	v_add_nc_u64_e32 v[6:7], v[0:1], v[2:3]
	s_fmamk_f32 s2, s5, 0x4f800000, s2
	v_mov_b32_e32 v5, v4
	s_delay_alu instid0(SALU_CYCLE_2) | instskip(NEXT) | instid1(VALU_DEP_2)
	v_s_rcp_f32 s2, s2
	v_xor_b32_e32 v8, v6, v2
	s_delay_alu instid0(VALU_DEP_3) | instskip(SKIP_1) | instid1(TRANS32_DEP_1)
	v_xor_b32_e32 v10, v7, v2
	v_xor_b32_e32 v2, s4, v2
	s_mul_f32 s2, s2, 0x5f7ffffc
	s_delay_alu instid0(SALU_CYCLE_3) | instskip(NEXT) | instid1(SALU_CYCLE_3)
	s_mul_f32 s5, s2, 0x2f800000
	s_trunc_f32 s5, s5
	s_delay_alu instid0(SALU_CYCLE_3) | instskip(SKIP_1) | instid1(SALU_CYCLE_2)
	s_fmamk_f32 s2, s5, 0xcf800000, s2
	s_cvt_u32_f32 s13, s5
	s_cvt_u32_f32 s12, s2
	s_delay_alu instid0(SALU_CYCLE_3) | instskip(NEXT) | instid1(SALU_CYCLE_1)
	s_mul_u64 s[16:17], s[14:15], s[12:13]
	s_mul_hi_u32 s21, s12, s17
	s_mul_i32 s20, s12, s17
	s_mul_hi_u32 s18, s12, s16
	s_mul_i32 s5, s13, s16
	s_add_nc_u64 s[20:21], s[18:19], s[20:21]
	s_mul_hi_u32 s2, s13, s16
	s_mul_hi_u32 s11, s13, s17
	s_add_co_u32 s5, s20, s5
	s_add_co_ci_u32 s18, s21, s2
	s_mul_i32 s16, s13, s17
	s_add_co_ci_u32 s17, s11, 0
	s_delay_alu instid0(SALU_CYCLE_1) | instskip(NEXT) | instid1(SALU_CYCLE_1)
	s_add_nc_u64 s[16:17], s[18:19], s[16:17]
	s_add_co_u32 s12, s12, s16
	s_cselect_b32 s2, -1, 0
	s_delay_alu instid0(SALU_CYCLE_1) | instskip(SKIP_1) | instid1(SALU_CYCLE_1)
	s_cmp_lg_u32 s2, 0
	s_add_co_ci_u32 s13, s13, s17
	s_mul_u64 s[14:15], s[14:15], s[12:13]
	s_delay_alu instid0(SALU_CYCLE_1)
	s_mul_hi_u32 s17, s12, s15
	s_mul_i32 s16, s12, s15
	s_mul_hi_u32 s18, s12, s14
	s_mul_i32 s5, s13, s14
	s_add_nc_u64 s[16:17], s[18:19], s[16:17]
	s_mul_hi_u32 s2, s13, s14
	s_mul_hi_u32 s11, s13, s15
	s_add_co_u32 s5, s16, s5
	s_add_co_ci_u32 s18, s17, s2
	s_mul_i32 s14, s13, s15
	s_add_co_ci_u32 s15, s11, 0
	s_delay_alu instid0(SALU_CYCLE_1) | instskip(NEXT) | instid1(SALU_CYCLE_1)
	s_add_nc_u64 s[14:15], s[18:19], s[14:15]
	s_add_co_u32 s2, s12, s14
	s_cselect_b32 s5, -1, 0
	v_mul_hi_u32 v16, v8, s2
	s_cmp_lg_u32 s5, 0
	s_add_co_ci_u32 s18, s13, s15
	s_mov_b64 s[12:13], 0xffffffff
	v_mul_u64_e32 v[12:13], s[18:19], v[8:9]
	s_and_b64 s[12:13], s[2:3], s[12:13]
	v_mul_u64_e32 v[14:15], s[18:19], v[10:11]
	v_mul_u64_e32 v[6:7], s[12:13], v[10:11]
	s_delay_alu instid0(VALU_DEP_3) | instskip(NEXT) | instid1(VALU_DEP_1)
	v_add_nc_u64_e32 v[12:13], v[16:17], v[12:13]
	v_add_co_u32 v3, vcc_lo, v12, v6
	s_delay_alu instid0(VALU_DEP_2) | instskip(SKIP_1) | instid1(VALU_DEP_1)
	v_add_co_ci_u32_e32 v4, vcc_lo, v13, v7, vcc_lo
	v_add_co_ci_u32_e32 v15, vcc_lo, 0, v15, vcc_lo
	v_add_nc_u64_e32 v[4:5], v[4:5], v[14:15]
	s_delay_alu instid0(VALU_DEP_1) | instskip(NEXT) | instid1(VALU_DEP_1)
	v_mul_u64_e32 v[6:7], s[8:9], v[4:5]
	v_sub_nc_u32_e32 v3, v10, v7
	s_delay_alu instid0(VALU_DEP_2) | instskip(NEXT) | instid1(VALU_DEP_1)
	v_sub_co_u32 v6, vcc_lo, v8, v6
	v_sub_co_ci_u32_e64 v10, null, v10, v7, vcc_lo
	s_delay_alu instid0(VALU_DEP_3) | instskip(NEXT) | instid1(VALU_DEP_3)
	v_subrev_co_ci_u32_e64 v3, null, s9, v3, vcc_lo
	v_sub_co_u32 v8, s2, v6, s8
	s_delay_alu instid0(VALU_DEP_1) | instskip(NEXT) | instid1(VALU_DEP_2)
	v_subrev_co_ci_u32_e64 v3, null, 0, v3, s2
	v_cmp_le_u32_e32 vcc_lo, s8, v8
	v_cndmask_b32_e64 v7, 0, -1, vcc_lo
	s_delay_alu instid0(VALU_DEP_3)
	v_cmp_le_u32_e32 vcc_lo, s9, v3
	v_cndmask_b32_e64 v8, 0, -1, vcc_lo
	v_cmp_le_u32_e32 vcc_lo, s8, v6
	v_cndmask_b32_e64 v11, 0, -1, vcc_lo
	;; [unrolled: 2-line block ×3, first 2 shown]
	v_cmp_eq_u32_e32 vcc_lo, s9, v3
	v_cndmask_b32_e32 v3, v8, v7, vcc_lo
	v_cmp_eq_u32_e32 vcc_lo, s9, v10
	v_add_nc_u64_e32 v[6:7], 2, v[4:5]
	v_add_nc_u64_e32 v[8:9], 1, v[4:5]
	v_cndmask_b32_e32 v10, v12, v11, vcc_lo
	v_cmp_ne_u32_e32 vcc_lo, 0, v3
	s_delay_alu instid0(VALU_DEP_2) | instskip(NEXT) | instid1(VALU_DEP_4)
	v_cmp_ne_u32_e64 s2, 0, v10
	v_dual_cndmask_b32 v6, v8, v6 :: v_dual_cndmask_b32 v3, v9, v7
	s_delay_alu instid0(VALU_DEP_1) | instskip(NEXT) | instid1(VALU_DEP_1)
	v_dual_cndmask_b32 v4, v4, v6, s2 :: v_dual_cndmask_b32 v5, v5, v3, s2
	v_dual_mov_b32 v3, v2 :: v_dual_bitop2_b32 v4, v4, v2 bitop3:0x14
	s_delay_alu instid0(VALU_DEP_2) | instskip(NEXT) | instid1(VALU_DEP_1)
	v_xor_b32_e32 v5, v5, v2
	v_sub_nc_u64_e32 v[2:3], v[4:5], v[2:3]
.LBB33_3:
	s_and_not1_saveexec_b32 s2, s10
	s_cbranch_execz .LBB33_5
; %bb.4:
	v_cvt_f32_u32_e32 v2, s6
	s_sub_co_i32 s4, 0, s6
	s_delay_alu instid0(VALU_DEP_1) | instskip(SKIP_1) | instid1(TRANS32_DEP_1)
	v_rcp_iflag_f32_e32 v2, v2
	v_nop
	v_mul_f32_e32 v2, 0x4f7ffffe, v2
	s_delay_alu instid0(VALU_DEP_1) | instskip(NEXT) | instid1(VALU_DEP_1)
	v_cvt_u32_f32_e32 v2, v2
	v_mul_lo_u32 v3, s4, v2
	s_delay_alu instid0(VALU_DEP_1) | instskip(NEXT) | instid1(VALU_DEP_1)
	v_mul_hi_u32 v3, v2, v3
	v_add_nc_u32_e32 v2, v2, v3
	s_delay_alu instid0(VALU_DEP_1) | instskip(NEXT) | instid1(VALU_DEP_1)
	v_mul_hi_u32 v2, v0, v2
	v_mul_lo_u32 v3, v2, s6
	s_delay_alu instid0(VALU_DEP_1) | instskip(NEXT) | instid1(VALU_DEP_1)
	v_dual_add_nc_u32 v4, 1, v2 :: v_dual_sub_nc_u32 v3, v0, v3
	v_subrev_nc_u32_e32 v5, s6, v3
	v_cmp_le_u32_e32 vcc_lo, s6, v3
	s_delay_alu instid0(VALU_DEP_2) | instskip(NEXT) | instid1(VALU_DEP_1)
	v_dual_cndmask_b32 v3, v3, v5 :: v_dual_cndmask_b32 v2, v2, v4
	v_cmp_le_u32_e32 vcc_lo, s6, v3
	s_delay_alu instid0(VALU_DEP_2) | instskip(NEXT) | instid1(VALU_DEP_1)
	v_dual_mov_b32 v3, 0 :: v_dual_add_nc_u32 v4, 1, v2
	v_cndmask_b32_e32 v2, v2, v4, vcc_lo
.LBB33_5:
	s_or_b32 exec_lo, exec_lo, s2
	s_delay_alu instid0(VALU_DEP_1)
	v_mul_u64_e32 v[4:5], s[6:7], v[2:3]
	s_clause 0x1
	s_load_b128 s[12:15], s[0:1], 0x90
	s_load_b256 s[4:11], s[0:1], 0x18
	s_wait_kmcnt 0x0
	s_bfe_u32 s5, ttmp6, 0x40014
	s_bfe_u32 s16, ttmp6, 0x40010
	s_lshr_b32 s2, ttmp7, 16
	s_and_b32 s20, ttmp7, 0xffff
	s_add_co_i32 s5, s5, 1
	s_add_co_i32 s16, s16, 1
	s_bfe_u32 s7, ttmp6, 0x40008
	s_bfe_u32 s17, ttmp6, 0x40004
	s_mul_i32 s5, s2, s5
	s_mul_i32 s16, s20, s16
	s_add_co_i32 s7, s7, s5
	s_add_co_i32 s5, s17, s16
	s_cmp_eq_u32 s3, 0
	s_load_b128 s[16:19], s[0:1], 0x38
	s_cselect_b32 s5, s20, s5
	s_cselect_b32 s7, s2, s7
	s_sub_co_i32 s3, 0, s12
	s_add_co_i32 s4, s12, s4
	s_max_i32 s3, s3, 0
	s_add_co_i32 s4, s4, -1
	s_add_co_i32 s6, s13, s6
	v_maxmin_i32 v3, s12, v2, s4
	s_max_i32 s4, s12, 0
	s_add_co_i32 s6, s6, -1
	s_sub_co_i32 s3, s3, s4
	s_sub_co_i32 s2, 0, s13
	s_add_co_i32 s12, s15, s7
	s_max_i32 s2, s2, 0
	v_sub_nc_u64_e32 v[0:1], v[0:1], v[4:5]
	v_add_nc_u32_e32 v4, s3, v3
	s_max_i32 s3, s13, 0
	s_add_co_i32 s14, s14, s5
	s_sub_co_i32 s2, s2, s3
	s_ashr_i32 s15, s14, 31
	s_delay_alu instid0(VALU_DEP_2) | instskip(SKIP_3) | instid1(SALU_CYCLE_1)
	v_maxmin_i32 v3, s13, v0, s6
	s_ashr_i32 s13, s12, 31
	s_mul_u64 s[6:7], s[10:11], s[14:15]
	s_mul_u64 s[4:5], s[8:9], s[12:13]
	s_lshl_b64 s[4:5], s[4:5], 1
	v_dual_add_nc_u32 v6, s2, v3 :: v_dual_ashrrev_i32 v5, 31, v4
	s_load_b64 s[2:3], s[0:1], 0x0
	v_ashrrev_i32_e32 v3, 31, v2
	s_delay_alu instid0(VALU_DEP_2) | instskip(SKIP_2) | instid1(VALU_DEP_2)
	v_ashrrev_i32_e32 v7, 31, v6
	s_wait_kmcnt 0x0
	v_mul_u64_e32 v[4:5], s[16:17], v[4:5]
	v_mul_u64_e32 v[6:7], s[18:19], v[6:7]
	s_add_nc_u64 s[2:3], s[2:3], s[4:5]
	s_lshl_b64 s[4:5], s[6:7], 1
	s_delay_alu instid0(SALU_CYCLE_1) | instskip(SKIP_1) | instid1(VALU_DEP_2)
	s_add_nc_u64 s[2:3], s[2:3], s[4:5]
	s_load_b256 s[4:11], s[0:1], 0x70
	v_lshl_add_u64 v[4:5], v[4:5], 1, s[2:3]
	s_wait_xcnt 0x0
	s_load_b64 s[0:1], s[0:1], 0x48
	s_delay_alu instid0(VALU_DEP_1)
	v_lshl_add_u64 v[4:5], v[6:7], 1, v[4:5]
	s_wait_kmcnt 0x0
	v_mul_u64_e32 v[2:3], s[8:9], v[2:3]
	v_mul_u64_e32 v[0:1], s[10:11], v[0:1]
	global_load_u16 v4, v[4:5], off
	s_mul_u64 s[2:3], s[4:5], s[12:13]
	s_mul_u64 s[4:5], s[6:7], s[14:15]
	s_lshl_b64 s[2:3], s[2:3], 1
	s_delay_alu instid0(SALU_CYCLE_1) | instskip(SKIP_1) | instid1(SALU_CYCLE_1)
	s_add_nc_u64 s[0:1], s[0:1], s[2:3]
	s_lshl_b64 s[2:3], s[4:5], 1
	s_add_nc_u64 s[0:1], s[0:1], s[2:3]
	s_delay_alu instid0(SALU_CYCLE_1) | instskip(NEXT) | instid1(VALU_DEP_1)
	v_lshl_add_u64 v[2:3], v[2:3], 1, s[0:1]
	v_lshl_add_u64 v[0:1], v[0:1], 1, v[2:3]
	s_wait_loadcnt 0x0
	global_store_b16 v[0:1], v4, off
.LBB33_6:
	s_endpgm
	.section	.rodata,"a",@progbits
	.p2align	6, 0x0
	.amdhsa_kernel _ZN2at6native12_GLOBAL__N_132replication_pad_forward_kernel2dIsEEvN5torch10headeronly6detail27GenericPackedTensorAccessorINS5_14TensorAccessorIN3c108ArrayRefIlEEKT_Lm3ENS4_16DefaultPtrTraitsElEENS_6detail16IndexBoundsCheckILm4ElEESC_Lm4ESD_lEENS6_INS7_ISA_SB_Lm3ESD_lEESH_SB_Lm4ESD_lEEiiii
		.amdhsa_group_segment_fixed_size 0
		.amdhsa_private_segment_fixed_size 0
		.amdhsa_kernarg_size 416
		.amdhsa_user_sgpr_count 2
		.amdhsa_user_sgpr_dispatch_ptr 0
		.amdhsa_user_sgpr_queue_ptr 0
		.amdhsa_user_sgpr_kernarg_segment_ptr 1
		.amdhsa_user_sgpr_dispatch_id 0
		.amdhsa_user_sgpr_kernarg_preload_length 0
		.amdhsa_user_sgpr_kernarg_preload_offset 0
		.amdhsa_user_sgpr_private_segment_size 0
		.amdhsa_wavefront_size32 1
		.amdhsa_uses_dynamic_stack 0
		.amdhsa_enable_private_segment 0
		.amdhsa_system_sgpr_workgroup_id_x 1
		.amdhsa_system_sgpr_workgroup_id_y 1
		.amdhsa_system_sgpr_workgroup_id_z 1
		.amdhsa_system_sgpr_workgroup_info 0
		.amdhsa_system_vgpr_workitem_id 0
		.amdhsa_next_free_vgpr 18
		.amdhsa_next_free_sgpr 22
		.amdhsa_named_barrier_count 0
		.amdhsa_reserve_vcc 1
		.amdhsa_float_round_mode_32 0
		.amdhsa_float_round_mode_16_64 0
		.amdhsa_float_denorm_mode_32 3
		.amdhsa_float_denorm_mode_16_64 3
		.amdhsa_fp16_overflow 0
		.amdhsa_memory_ordered 1
		.amdhsa_forward_progress 1
		.amdhsa_inst_pref_size 10
		.amdhsa_round_robin_scheduling 0
		.amdhsa_exception_fp_ieee_invalid_op 0
		.amdhsa_exception_fp_denorm_src 0
		.amdhsa_exception_fp_ieee_div_zero 0
		.amdhsa_exception_fp_ieee_overflow 0
		.amdhsa_exception_fp_ieee_underflow 0
		.amdhsa_exception_fp_ieee_inexact 0
		.amdhsa_exception_int_div_zero 0
	.end_amdhsa_kernel
	.section	.text._ZN2at6native12_GLOBAL__N_132replication_pad_forward_kernel2dIsEEvN5torch10headeronly6detail27GenericPackedTensorAccessorINS5_14TensorAccessorIN3c108ArrayRefIlEEKT_Lm3ENS4_16DefaultPtrTraitsElEENS_6detail16IndexBoundsCheckILm4ElEESC_Lm4ESD_lEENS6_INS7_ISA_SB_Lm3ESD_lEESH_SB_Lm4ESD_lEEiiii,"axG",@progbits,_ZN2at6native12_GLOBAL__N_132replication_pad_forward_kernel2dIsEEvN5torch10headeronly6detail27GenericPackedTensorAccessorINS5_14TensorAccessorIN3c108ArrayRefIlEEKT_Lm3ENS4_16DefaultPtrTraitsElEENS_6detail16IndexBoundsCheckILm4ElEESC_Lm4ESD_lEENS6_INS7_ISA_SB_Lm3ESD_lEESH_SB_Lm4ESD_lEEiiii,comdat
.Lfunc_end33:
	.size	_ZN2at6native12_GLOBAL__N_132replication_pad_forward_kernel2dIsEEvN5torch10headeronly6detail27GenericPackedTensorAccessorINS5_14TensorAccessorIN3c108ArrayRefIlEEKT_Lm3ENS4_16DefaultPtrTraitsElEENS_6detail16IndexBoundsCheckILm4ElEESC_Lm4ESD_lEENS6_INS7_ISA_SB_Lm3ESD_lEESH_SB_Lm4ESD_lEEiiii, .Lfunc_end33-_ZN2at6native12_GLOBAL__N_132replication_pad_forward_kernel2dIsEEvN5torch10headeronly6detail27GenericPackedTensorAccessorINS5_14TensorAccessorIN3c108ArrayRefIlEEKT_Lm3ENS4_16DefaultPtrTraitsElEENS_6detail16IndexBoundsCheckILm4ElEESC_Lm4ESD_lEENS6_INS7_ISA_SB_Lm3ESD_lEESH_SB_Lm4ESD_lEEiiii
                                        ; -- End function
	.set _ZN2at6native12_GLOBAL__N_132replication_pad_forward_kernel2dIsEEvN5torch10headeronly6detail27GenericPackedTensorAccessorINS5_14TensorAccessorIN3c108ArrayRefIlEEKT_Lm3ENS4_16DefaultPtrTraitsElEENS_6detail16IndexBoundsCheckILm4ElEESC_Lm4ESD_lEENS6_INS7_ISA_SB_Lm3ESD_lEESH_SB_Lm4ESD_lEEiiii.num_vgpr, 18
	.set _ZN2at6native12_GLOBAL__N_132replication_pad_forward_kernel2dIsEEvN5torch10headeronly6detail27GenericPackedTensorAccessorINS5_14TensorAccessorIN3c108ArrayRefIlEEKT_Lm3ENS4_16DefaultPtrTraitsElEENS_6detail16IndexBoundsCheckILm4ElEESC_Lm4ESD_lEENS6_INS7_ISA_SB_Lm3ESD_lEESH_SB_Lm4ESD_lEEiiii.num_agpr, 0
	.set _ZN2at6native12_GLOBAL__N_132replication_pad_forward_kernel2dIsEEvN5torch10headeronly6detail27GenericPackedTensorAccessorINS5_14TensorAccessorIN3c108ArrayRefIlEEKT_Lm3ENS4_16DefaultPtrTraitsElEENS_6detail16IndexBoundsCheckILm4ElEESC_Lm4ESD_lEENS6_INS7_ISA_SB_Lm3ESD_lEESH_SB_Lm4ESD_lEEiiii.numbered_sgpr, 22
	.set _ZN2at6native12_GLOBAL__N_132replication_pad_forward_kernel2dIsEEvN5torch10headeronly6detail27GenericPackedTensorAccessorINS5_14TensorAccessorIN3c108ArrayRefIlEEKT_Lm3ENS4_16DefaultPtrTraitsElEENS_6detail16IndexBoundsCheckILm4ElEESC_Lm4ESD_lEENS6_INS7_ISA_SB_Lm3ESD_lEESH_SB_Lm4ESD_lEEiiii.num_named_barrier, 0
	.set _ZN2at6native12_GLOBAL__N_132replication_pad_forward_kernel2dIsEEvN5torch10headeronly6detail27GenericPackedTensorAccessorINS5_14TensorAccessorIN3c108ArrayRefIlEEKT_Lm3ENS4_16DefaultPtrTraitsElEENS_6detail16IndexBoundsCheckILm4ElEESC_Lm4ESD_lEENS6_INS7_ISA_SB_Lm3ESD_lEESH_SB_Lm4ESD_lEEiiii.private_seg_size, 0
	.set _ZN2at6native12_GLOBAL__N_132replication_pad_forward_kernel2dIsEEvN5torch10headeronly6detail27GenericPackedTensorAccessorINS5_14TensorAccessorIN3c108ArrayRefIlEEKT_Lm3ENS4_16DefaultPtrTraitsElEENS_6detail16IndexBoundsCheckILm4ElEESC_Lm4ESD_lEENS6_INS7_ISA_SB_Lm3ESD_lEESH_SB_Lm4ESD_lEEiiii.uses_vcc, 1
	.set _ZN2at6native12_GLOBAL__N_132replication_pad_forward_kernel2dIsEEvN5torch10headeronly6detail27GenericPackedTensorAccessorINS5_14TensorAccessorIN3c108ArrayRefIlEEKT_Lm3ENS4_16DefaultPtrTraitsElEENS_6detail16IndexBoundsCheckILm4ElEESC_Lm4ESD_lEENS6_INS7_ISA_SB_Lm3ESD_lEESH_SB_Lm4ESD_lEEiiii.uses_flat_scratch, 0
	.set _ZN2at6native12_GLOBAL__N_132replication_pad_forward_kernel2dIsEEvN5torch10headeronly6detail27GenericPackedTensorAccessorINS5_14TensorAccessorIN3c108ArrayRefIlEEKT_Lm3ENS4_16DefaultPtrTraitsElEENS_6detail16IndexBoundsCheckILm4ElEESC_Lm4ESD_lEENS6_INS7_ISA_SB_Lm3ESD_lEESH_SB_Lm4ESD_lEEiiii.has_dyn_sized_stack, 0
	.set _ZN2at6native12_GLOBAL__N_132replication_pad_forward_kernel2dIsEEvN5torch10headeronly6detail27GenericPackedTensorAccessorINS5_14TensorAccessorIN3c108ArrayRefIlEEKT_Lm3ENS4_16DefaultPtrTraitsElEENS_6detail16IndexBoundsCheckILm4ElEESC_Lm4ESD_lEENS6_INS7_ISA_SB_Lm3ESD_lEESH_SB_Lm4ESD_lEEiiii.has_recursion, 0
	.set _ZN2at6native12_GLOBAL__N_132replication_pad_forward_kernel2dIsEEvN5torch10headeronly6detail27GenericPackedTensorAccessorINS5_14TensorAccessorIN3c108ArrayRefIlEEKT_Lm3ENS4_16DefaultPtrTraitsElEENS_6detail16IndexBoundsCheckILm4ElEESC_Lm4ESD_lEENS6_INS7_ISA_SB_Lm3ESD_lEESH_SB_Lm4ESD_lEEiiii.has_indirect_call, 0
	.section	.AMDGPU.csdata,"",@progbits
; Kernel info:
; codeLenInByte = 1268
; TotalNumSgprs: 24
; NumVgprs: 18
; ScratchSize: 0
; MemoryBound: 0
; FloatMode: 240
; IeeeMode: 1
; LDSByteSize: 0 bytes/workgroup (compile time only)
; SGPRBlocks: 0
; VGPRBlocks: 1
; NumSGPRsForWavesPerEU: 24
; NumVGPRsForWavesPerEU: 18
; NamedBarCnt: 0
; Occupancy: 16
; WaveLimiterHint : 1
; COMPUTE_PGM_RSRC2:SCRATCH_EN: 0
; COMPUTE_PGM_RSRC2:USER_SGPR: 2
; COMPUTE_PGM_RSRC2:TRAP_HANDLER: 0
; COMPUTE_PGM_RSRC2:TGID_X_EN: 1
; COMPUTE_PGM_RSRC2:TGID_Y_EN: 1
; COMPUTE_PGM_RSRC2:TGID_Z_EN: 1
; COMPUTE_PGM_RSRC2:TIDIG_COMP_CNT: 0
	.section	.text._ZN2at6native12_GLOBAL__N_132replication_pad_forward_kernel2dIdEEvN5torch10headeronly6detail27GenericPackedTensorAccessorINS5_14TensorAccessorIN3c108ArrayRefIlEEKT_Lm3ENS4_16DefaultPtrTraitsElEENS_6detail16IndexBoundsCheckILm4ElEESC_Lm4ESD_lEENS6_INS7_ISA_SB_Lm3ESD_lEESH_SB_Lm4ESD_lEEiiii,"axG",@progbits,_ZN2at6native12_GLOBAL__N_132replication_pad_forward_kernel2dIdEEvN5torch10headeronly6detail27GenericPackedTensorAccessorINS5_14TensorAccessorIN3c108ArrayRefIlEEKT_Lm3ENS4_16DefaultPtrTraitsElEENS_6detail16IndexBoundsCheckILm4ElEESC_Lm4ESD_lEENS6_INS7_ISA_SB_Lm3ESD_lEESH_SB_Lm4ESD_lEEiiii,comdat
	.globl	_ZN2at6native12_GLOBAL__N_132replication_pad_forward_kernel2dIdEEvN5torch10headeronly6detail27GenericPackedTensorAccessorINS5_14TensorAccessorIN3c108ArrayRefIlEEKT_Lm3ENS4_16DefaultPtrTraitsElEENS_6detail16IndexBoundsCheckILm4ElEESC_Lm4ESD_lEENS6_INS7_ISA_SB_Lm3ESD_lEESH_SB_Lm4ESD_lEEiiii ; -- Begin function _ZN2at6native12_GLOBAL__N_132replication_pad_forward_kernel2dIdEEvN5torch10headeronly6detail27GenericPackedTensorAccessorINS5_14TensorAccessorIN3c108ArrayRefIlEEKT_Lm3ENS4_16DefaultPtrTraitsElEENS_6detail16IndexBoundsCheckILm4ElEESC_Lm4ESD_lEENS6_INS7_ISA_SB_Lm3ESD_lEESH_SB_Lm4ESD_lEEiiii
	.p2align	8
	.type	_ZN2at6native12_GLOBAL__N_132replication_pad_forward_kernel2dIdEEvN5torch10headeronly6detail27GenericPackedTensorAccessorINS5_14TensorAccessorIN3c108ArrayRefIlEEKT_Lm3ENS4_16DefaultPtrTraitsElEENS_6detail16IndexBoundsCheckILm4ElEESC_Lm4ESD_lEENS6_INS7_ISA_SB_Lm3ESD_lEESH_SB_Lm4ESD_lEEiiii,@function
_ZN2at6native12_GLOBAL__N_132replication_pad_forward_kernel2dIdEEvN5torch10headeronly6detail27GenericPackedTensorAccessorINS5_14TensorAccessorIN3c108ArrayRefIlEEKT_Lm3ENS4_16DefaultPtrTraitsElEENS_6detail16IndexBoundsCheckILm4ElEESC_Lm4ESD_lEENS6_INS7_ISA_SB_Lm3ESD_lEESH_SB_Lm4ESD_lEEiiii: ; @_ZN2at6native12_GLOBAL__N_132replication_pad_forward_kernel2dIdEEvN5torch10headeronly6detail27GenericPackedTensorAccessorINS5_14TensorAccessorIN3c108ArrayRefIlEEKT_Lm3ENS4_16DefaultPtrTraitsElEENS_6detail16IndexBoundsCheckILm4ElEESC_Lm4ESD_lEENS6_INS7_ISA_SB_Lm3ESD_lEESH_SB_Lm4ESD_lEEiiii
; %bb.0:
	s_load_b32 s2, s[0:1], 0xac
	s_bfe_u32 s4, ttmp6, 0x4000c
	s_and_b32 s8, ttmp6, 15
	s_add_co_i32 s9, s4, 1
	s_getreg_b32 s3, hwreg(HW_REG_IB_STS2, 6, 4)
	s_mul_i32 s9, ttmp9, s9
	s_load_b128 s[4:7], s[0:1], 0x60
	s_add_co_i32 s8, s8, s9
	s_wait_kmcnt 0x0
	s_and_b32 s2, s2, 0xffff
	s_cmp_eq_u32 s3, 0
	s_cselect_b32 s8, ttmp9, s8
	s_delay_alu instid0(SALU_CYCLE_1) | instskip(SKIP_2) | instid1(VALU_DEP_1)
	v_mad_u32 v0, s8, s2, v0
	s_mul_u64 s[4:5], s[6:7], s[4:5]
	s_mov_b32 s2, exec_lo
	v_ashrrev_i32_e32 v1, 31, v0
	s_delay_alu instid0(VALU_DEP_1)
	v_cmpx_gt_i64_e64 s[4:5], v[0:1]
	s_cbranch_execz .LBB34_6
; %bb.1:
	v_dual_mov_b32 v4, 0 :: v_dual_bitop2_b32 v5, s7, v1 bitop3:0x54
                                        ; implicit-def: $vgpr2_vgpr3
	s_mov_b32 s2, exec_lo
	s_delay_alu instid0(VALU_DEP_1)
	v_cmpx_ne_u64_e32 0, v[4:5]
	s_xor_b32 s10, exec_lo, s2
	s_cbranch_execz .LBB34_3
; %bb.2:
	s_ashr_i32 s4, s7, 31
	s_mov_b32 s19, 0
	s_mov_b32 s5, s4
	v_dual_mov_b32 v9, v4 :: v_dual_ashrrev_i32 v2, 31, v1
	s_add_nc_u64 s[8:9], s[6:7], s[4:5]
	v_mov_b32_e32 v11, v4
	s_xor_b64 s[8:9], s[8:9], s[4:5]
	s_delay_alu instid0(VALU_DEP_2)
	v_mov_b32_e32 v3, v2
	s_cvt_f32_u32 s2, s8
	s_cvt_f32_u32 s5, s9
	s_sub_nc_u64 s[14:15], 0, s[8:9]
	v_mov_b32_e32 v17, v4
	v_add_nc_u64_e32 v[6:7], v[0:1], v[2:3]
	s_fmamk_f32 s2, s5, 0x4f800000, s2
	v_mov_b32_e32 v5, v4
	s_delay_alu instid0(SALU_CYCLE_2) | instskip(NEXT) | instid1(VALU_DEP_2)
	v_s_rcp_f32 s2, s2
	v_xor_b32_e32 v8, v6, v2
	s_delay_alu instid0(VALU_DEP_3) | instskip(SKIP_1) | instid1(TRANS32_DEP_1)
	v_xor_b32_e32 v10, v7, v2
	v_xor_b32_e32 v2, s4, v2
	s_mul_f32 s2, s2, 0x5f7ffffc
	s_delay_alu instid0(SALU_CYCLE_3) | instskip(NEXT) | instid1(SALU_CYCLE_3)
	s_mul_f32 s5, s2, 0x2f800000
	s_trunc_f32 s5, s5
	s_delay_alu instid0(SALU_CYCLE_3) | instskip(SKIP_1) | instid1(SALU_CYCLE_2)
	s_fmamk_f32 s2, s5, 0xcf800000, s2
	s_cvt_u32_f32 s13, s5
	s_cvt_u32_f32 s12, s2
	s_delay_alu instid0(SALU_CYCLE_3) | instskip(NEXT) | instid1(SALU_CYCLE_1)
	s_mul_u64 s[16:17], s[14:15], s[12:13]
	s_mul_hi_u32 s21, s12, s17
	s_mul_i32 s20, s12, s17
	s_mul_hi_u32 s18, s12, s16
	s_mul_i32 s5, s13, s16
	s_add_nc_u64 s[20:21], s[18:19], s[20:21]
	s_mul_hi_u32 s2, s13, s16
	s_mul_hi_u32 s11, s13, s17
	s_add_co_u32 s5, s20, s5
	s_add_co_ci_u32 s18, s21, s2
	s_mul_i32 s16, s13, s17
	s_add_co_ci_u32 s17, s11, 0
	s_delay_alu instid0(SALU_CYCLE_1) | instskip(NEXT) | instid1(SALU_CYCLE_1)
	s_add_nc_u64 s[16:17], s[18:19], s[16:17]
	s_add_co_u32 s12, s12, s16
	s_cselect_b32 s2, -1, 0
	s_delay_alu instid0(SALU_CYCLE_1) | instskip(SKIP_1) | instid1(SALU_CYCLE_1)
	s_cmp_lg_u32 s2, 0
	s_add_co_ci_u32 s13, s13, s17
	s_mul_u64 s[14:15], s[14:15], s[12:13]
	s_delay_alu instid0(SALU_CYCLE_1)
	s_mul_hi_u32 s17, s12, s15
	s_mul_i32 s16, s12, s15
	s_mul_hi_u32 s18, s12, s14
	s_mul_i32 s5, s13, s14
	s_add_nc_u64 s[16:17], s[18:19], s[16:17]
	s_mul_hi_u32 s2, s13, s14
	s_mul_hi_u32 s11, s13, s15
	s_add_co_u32 s5, s16, s5
	s_add_co_ci_u32 s18, s17, s2
	s_mul_i32 s14, s13, s15
	s_add_co_ci_u32 s15, s11, 0
	s_delay_alu instid0(SALU_CYCLE_1) | instskip(NEXT) | instid1(SALU_CYCLE_1)
	s_add_nc_u64 s[14:15], s[18:19], s[14:15]
	s_add_co_u32 s2, s12, s14
	s_cselect_b32 s5, -1, 0
	v_mul_hi_u32 v16, v8, s2
	s_cmp_lg_u32 s5, 0
	s_add_co_ci_u32 s18, s13, s15
	s_mov_b64 s[12:13], 0xffffffff
	v_mul_u64_e32 v[12:13], s[18:19], v[8:9]
	s_and_b64 s[12:13], s[2:3], s[12:13]
	v_mul_u64_e32 v[14:15], s[18:19], v[10:11]
	v_mul_u64_e32 v[6:7], s[12:13], v[10:11]
	s_delay_alu instid0(VALU_DEP_3) | instskip(NEXT) | instid1(VALU_DEP_1)
	v_add_nc_u64_e32 v[12:13], v[16:17], v[12:13]
	v_add_co_u32 v3, vcc_lo, v12, v6
	s_delay_alu instid0(VALU_DEP_2) | instskip(SKIP_1) | instid1(VALU_DEP_1)
	v_add_co_ci_u32_e32 v4, vcc_lo, v13, v7, vcc_lo
	v_add_co_ci_u32_e32 v15, vcc_lo, 0, v15, vcc_lo
	v_add_nc_u64_e32 v[4:5], v[4:5], v[14:15]
	s_delay_alu instid0(VALU_DEP_1) | instskip(NEXT) | instid1(VALU_DEP_1)
	v_mul_u64_e32 v[6:7], s[8:9], v[4:5]
	v_sub_nc_u32_e32 v3, v10, v7
	s_delay_alu instid0(VALU_DEP_2) | instskip(NEXT) | instid1(VALU_DEP_1)
	v_sub_co_u32 v6, vcc_lo, v8, v6
	v_sub_co_ci_u32_e64 v10, null, v10, v7, vcc_lo
	s_delay_alu instid0(VALU_DEP_3) | instskip(NEXT) | instid1(VALU_DEP_3)
	v_subrev_co_ci_u32_e64 v3, null, s9, v3, vcc_lo
	v_sub_co_u32 v8, s2, v6, s8
	s_delay_alu instid0(VALU_DEP_1) | instskip(NEXT) | instid1(VALU_DEP_2)
	v_subrev_co_ci_u32_e64 v3, null, 0, v3, s2
	v_cmp_le_u32_e32 vcc_lo, s8, v8
	v_cndmask_b32_e64 v7, 0, -1, vcc_lo
	s_delay_alu instid0(VALU_DEP_3)
	v_cmp_le_u32_e32 vcc_lo, s9, v3
	v_cndmask_b32_e64 v8, 0, -1, vcc_lo
	v_cmp_le_u32_e32 vcc_lo, s8, v6
	v_cndmask_b32_e64 v11, 0, -1, vcc_lo
	;; [unrolled: 2-line block ×3, first 2 shown]
	v_cmp_eq_u32_e32 vcc_lo, s9, v3
	v_cndmask_b32_e32 v3, v8, v7, vcc_lo
	v_cmp_eq_u32_e32 vcc_lo, s9, v10
	v_add_nc_u64_e32 v[6:7], 2, v[4:5]
	v_add_nc_u64_e32 v[8:9], 1, v[4:5]
	v_cndmask_b32_e32 v10, v12, v11, vcc_lo
	v_cmp_ne_u32_e32 vcc_lo, 0, v3
	s_delay_alu instid0(VALU_DEP_2) | instskip(NEXT) | instid1(VALU_DEP_4)
	v_cmp_ne_u32_e64 s2, 0, v10
	v_dual_cndmask_b32 v6, v8, v6 :: v_dual_cndmask_b32 v3, v9, v7
	s_delay_alu instid0(VALU_DEP_1) | instskip(NEXT) | instid1(VALU_DEP_1)
	v_dual_cndmask_b32 v4, v4, v6, s2 :: v_dual_cndmask_b32 v5, v5, v3, s2
	v_dual_mov_b32 v3, v2 :: v_dual_bitop2_b32 v4, v4, v2 bitop3:0x14
	s_delay_alu instid0(VALU_DEP_2) | instskip(NEXT) | instid1(VALU_DEP_1)
	v_xor_b32_e32 v5, v5, v2
	v_sub_nc_u64_e32 v[2:3], v[4:5], v[2:3]
.LBB34_3:
	s_and_not1_saveexec_b32 s2, s10
	s_cbranch_execz .LBB34_5
; %bb.4:
	v_cvt_f32_u32_e32 v2, s6
	s_sub_co_i32 s4, 0, s6
	s_delay_alu instid0(VALU_DEP_1) | instskip(SKIP_1) | instid1(TRANS32_DEP_1)
	v_rcp_iflag_f32_e32 v2, v2
	v_nop
	v_mul_f32_e32 v2, 0x4f7ffffe, v2
	s_delay_alu instid0(VALU_DEP_1) | instskip(NEXT) | instid1(VALU_DEP_1)
	v_cvt_u32_f32_e32 v2, v2
	v_mul_lo_u32 v3, s4, v2
	s_delay_alu instid0(VALU_DEP_1) | instskip(NEXT) | instid1(VALU_DEP_1)
	v_mul_hi_u32 v3, v2, v3
	v_add_nc_u32_e32 v2, v2, v3
	s_delay_alu instid0(VALU_DEP_1) | instskip(NEXT) | instid1(VALU_DEP_1)
	v_mul_hi_u32 v2, v0, v2
	v_mul_lo_u32 v3, v2, s6
	s_delay_alu instid0(VALU_DEP_1) | instskip(NEXT) | instid1(VALU_DEP_1)
	v_dual_add_nc_u32 v4, 1, v2 :: v_dual_sub_nc_u32 v3, v0, v3
	v_subrev_nc_u32_e32 v5, s6, v3
	v_cmp_le_u32_e32 vcc_lo, s6, v3
	s_delay_alu instid0(VALU_DEP_2) | instskip(NEXT) | instid1(VALU_DEP_1)
	v_dual_cndmask_b32 v3, v3, v5 :: v_dual_cndmask_b32 v2, v2, v4
	v_cmp_le_u32_e32 vcc_lo, s6, v3
	s_delay_alu instid0(VALU_DEP_2) | instskip(NEXT) | instid1(VALU_DEP_1)
	v_dual_mov_b32 v3, 0 :: v_dual_add_nc_u32 v4, 1, v2
	v_cndmask_b32_e32 v2, v2, v4, vcc_lo
.LBB34_5:
	s_or_b32 exec_lo, exec_lo, s2
	s_delay_alu instid0(VALU_DEP_1)
	v_mul_u64_e32 v[4:5], s[6:7], v[2:3]
	s_clause 0x1
	s_load_b128 s[12:15], s[0:1], 0x90
	s_load_b256 s[4:11], s[0:1], 0x18
	s_wait_kmcnt 0x0
	s_bfe_u32 s5, ttmp6, 0x40014
	s_bfe_u32 s16, ttmp6, 0x40010
	s_lshr_b32 s2, ttmp7, 16
	s_and_b32 s20, ttmp7, 0xffff
	s_add_co_i32 s5, s5, 1
	s_add_co_i32 s16, s16, 1
	s_bfe_u32 s7, ttmp6, 0x40008
	s_bfe_u32 s17, ttmp6, 0x40004
	s_mul_i32 s5, s2, s5
	s_mul_i32 s16, s20, s16
	s_add_co_i32 s7, s7, s5
	s_add_co_i32 s5, s17, s16
	s_cmp_eq_u32 s3, 0
	s_load_b128 s[16:19], s[0:1], 0x38
	s_cselect_b32 s5, s20, s5
	s_cselect_b32 s7, s2, s7
	s_sub_co_i32 s3, 0, s12
	s_add_co_i32 s4, s12, s4
	s_max_i32 s3, s3, 0
	s_add_co_i32 s4, s4, -1
	s_add_co_i32 s6, s13, s6
	v_maxmin_i32 v3, s12, v2, s4
	s_max_i32 s4, s12, 0
	s_add_co_i32 s6, s6, -1
	s_sub_co_i32 s3, s3, s4
	s_sub_co_i32 s2, 0, s13
	s_add_co_i32 s12, s15, s7
	s_max_i32 s2, s2, 0
	v_sub_nc_u64_e32 v[0:1], v[0:1], v[4:5]
	v_add_nc_u32_e32 v4, s3, v3
	s_max_i32 s3, s13, 0
	s_add_co_i32 s14, s14, s5
	s_sub_co_i32 s2, s2, s3
	s_ashr_i32 s15, s14, 31
	s_delay_alu instid0(VALU_DEP_2) | instskip(SKIP_3) | instid1(SALU_CYCLE_1)
	v_maxmin_i32 v3, s13, v0, s6
	s_ashr_i32 s13, s12, 31
	s_mul_u64 s[6:7], s[10:11], s[14:15]
	s_mul_u64 s[4:5], s[8:9], s[12:13]
	s_lshl_b64 s[4:5], s[4:5], 3
	v_dual_add_nc_u32 v6, s2, v3 :: v_dual_ashrrev_i32 v5, 31, v4
	s_load_b64 s[2:3], s[0:1], 0x0
	v_ashrrev_i32_e32 v3, 31, v2
	s_delay_alu instid0(VALU_DEP_2) | instskip(SKIP_2) | instid1(VALU_DEP_2)
	v_ashrrev_i32_e32 v7, 31, v6
	s_wait_kmcnt 0x0
	v_mul_u64_e32 v[4:5], s[16:17], v[4:5]
	v_mul_u64_e32 v[6:7], s[18:19], v[6:7]
	s_add_nc_u64 s[2:3], s[2:3], s[4:5]
	s_lshl_b64 s[4:5], s[6:7], 3
	s_delay_alu instid0(SALU_CYCLE_1) | instskip(SKIP_1) | instid1(VALU_DEP_2)
	s_add_nc_u64 s[2:3], s[2:3], s[4:5]
	s_load_b256 s[4:11], s[0:1], 0x70
	v_lshl_add_u64 v[4:5], v[4:5], 3, s[2:3]
	s_wait_xcnt 0x0
	s_load_b64 s[0:1], s[0:1], 0x48
	s_delay_alu instid0(VALU_DEP_1)
	v_lshl_add_u64 v[4:5], v[6:7], 3, v[4:5]
	s_wait_kmcnt 0x0
	v_mul_u64_e32 v[2:3], s[8:9], v[2:3]
	v_mul_u64_e32 v[0:1], s[10:11], v[0:1]
	global_load_b64 v[4:5], v[4:5], off
	s_mul_u64 s[2:3], s[4:5], s[12:13]
	s_mul_u64 s[4:5], s[6:7], s[14:15]
	s_lshl_b64 s[2:3], s[2:3], 3
	s_delay_alu instid0(SALU_CYCLE_1) | instskip(SKIP_1) | instid1(SALU_CYCLE_1)
	s_add_nc_u64 s[0:1], s[0:1], s[2:3]
	s_lshl_b64 s[2:3], s[4:5], 3
	s_add_nc_u64 s[0:1], s[0:1], s[2:3]
	s_delay_alu instid0(SALU_CYCLE_1) | instskip(NEXT) | instid1(VALU_DEP_1)
	v_lshl_add_u64 v[2:3], v[2:3], 3, s[0:1]
	v_lshl_add_u64 v[0:1], v[0:1], 3, v[2:3]
	s_wait_loadcnt 0x0
	global_store_b64 v[0:1], v[4:5], off
.LBB34_6:
	s_endpgm
	.section	.rodata,"a",@progbits
	.p2align	6, 0x0
	.amdhsa_kernel _ZN2at6native12_GLOBAL__N_132replication_pad_forward_kernel2dIdEEvN5torch10headeronly6detail27GenericPackedTensorAccessorINS5_14TensorAccessorIN3c108ArrayRefIlEEKT_Lm3ENS4_16DefaultPtrTraitsElEENS_6detail16IndexBoundsCheckILm4ElEESC_Lm4ESD_lEENS6_INS7_ISA_SB_Lm3ESD_lEESH_SB_Lm4ESD_lEEiiii
		.amdhsa_group_segment_fixed_size 0
		.amdhsa_private_segment_fixed_size 0
		.amdhsa_kernarg_size 416
		.amdhsa_user_sgpr_count 2
		.amdhsa_user_sgpr_dispatch_ptr 0
		.amdhsa_user_sgpr_queue_ptr 0
		.amdhsa_user_sgpr_kernarg_segment_ptr 1
		.amdhsa_user_sgpr_dispatch_id 0
		.amdhsa_user_sgpr_kernarg_preload_length 0
		.amdhsa_user_sgpr_kernarg_preload_offset 0
		.amdhsa_user_sgpr_private_segment_size 0
		.amdhsa_wavefront_size32 1
		.amdhsa_uses_dynamic_stack 0
		.amdhsa_enable_private_segment 0
		.amdhsa_system_sgpr_workgroup_id_x 1
		.amdhsa_system_sgpr_workgroup_id_y 1
		.amdhsa_system_sgpr_workgroup_id_z 1
		.amdhsa_system_sgpr_workgroup_info 0
		.amdhsa_system_vgpr_workitem_id 0
		.amdhsa_next_free_vgpr 18
		.amdhsa_next_free_sgpr 22
		.amdhsa_named_barrier_count 0
		.amdhsa_reserve_vcc 1
		.amdhsa_float_round_mode_32 0
		.amdhsa_float_round_mode_16_64 0
		.amdhsa_float_denorm_mode_32 3
		.amdhsa_float_denorm_mode_16_64 3
		.amdhsa_fp16_overflow 0
		.amdhsa_memory_ordered 1
		.amdhsa_forward_progress 1
		.amdhsa_inst_pref_size 10
		.amdhsa_round_robin_scheduling 0
		.amdhsa_exception_fp_ieee_invalid_op 0
		.amdhsa_exception_fp_denorm_src 0
		.amdhsa_exception_fp_ieee_div_zero 0
		.amdhsa_exception_fp_ieee_overflow 0
		.amdhsa_exception_fp_ieee_underflow 0
		.amdhsa_exception_fp_ieee_inexact 0
		.amdhsa_exception_int_div_zero 0
	.end_amdhsa_kernel
	.section	.text._ZN2at6native12_GLOBAL__N_132replication_pad_forward_kernel2dIdEEvN5torch10headeronly6detail27GenericPackedTensorAccessorINS5_14TensorAccessorIN3c108ArrayRefIlEEKT_Lm3ENS4_16DefaultPtrTraitsElEENS_6detail16IndexBoundsCheckILm4ElEESC_Lm4ESD_lEENS6_INS7_ISA_SB_Lm3ESD_lEESH_SB_Lm4ESD_lEEiiii,"axG",@progbits,_ZN2at6native12_GLOBAL__N_132replication_pad_forward_kernel2dIdEEvN5torch10headeronly6detail27GenericPackedTensorAccessorINS5_14TensorAccessorIN3c108ArrayRefIlEEKT_Lm3ENS4_16DefaultPtrTraitsElEENS_6detail16IndexBoundsCheckILm4ElEESC_Lm4ESD_lEENS6_INS7_ISA_SB_Lm3ESD_lEESH_SB_Lm4ESD_lEEiiii,comdat
.Lfunc_end34:
	.size	_ZN2at6native12_GLOBAL__N_132replication_pad_forward_kernel2dIdEEvN5torch10headeronly6detail27GenericPackedTensorAccessorINS5_14TensorAccessorIN3c108ArrayRefIlEEKT_Lm3ENS4_16DefaultPtrTraitsElEENS_6detail16IndexBoundsCheckILm4ElEESC_Lm4ESD_lEENS6_INS7_ISA_SB_Lm3ESD_lEESH_SB_Lm4ESD_lEEiiii, .Lfunc_end34-_ZN2at6native12_GLOBAL__N_132replication_pad_forward_kernel2dIdEEvN5torch10headeronly6detail27GenericPackedTensorAccessorINS5_14TensorAccessorIN3c108ArrayRefIlEEKT_Lm3ENS4_16DefaultPtrTraitsElEENS_6detail16IndexBoundsCheckILm4ElEESC_Lm4ESD_lEENS6_INS7_ISA_SB_Lm3ESD_lEESH_SB_Lm4ESD_lEEiiii
                                        ; -- End function
	.set _ZN2at6native12_GLOBAL__N_132replication_pad_forward_kernel2dIdEEvN5torch10headeronly6detail27GenericPackedTensorAccessorINS5_14TensorAccessorIN3c108ArrayRefIlEEKT_Lm3ENS4_16DefaultPtrTraitsElEENS_6detail16IndexBoundsCheckILm4ElEESC_Lm4ESD_lEENS6_INS7_ISA_SB_Lm3ESD_lEESH_SB_Lm4ESD_lEEiiii.num_vgpr, 18
	.set _ZN2at6native12_GLOBAL__N_132replication_pad_forward_kernel2dIdEEvN5torch10headeronly6detail27GenericPackedTensorAccessorINS5_14TensorAccessorIN3c108ArrayRefIlEEKT_Lm3ENS4_16DefaultPtrTraitsElEENS_6detail16IndexBoundsCheckILm4ElEESC_Lm4ESD_lEENS6_INS7_ISA_SB_Lm3ESD_lEESH_SB_Lm4ESD_lEEiiii.num_agpr, 0
	.set _ZN2at6native12_GLOBAL__N_132replication_pad_forward_kernel2dIdEEvN5torch10headeronly6detail27GenericPackedTensorAccessorINS5_14TensorAccessorIN3c108ArrayRefIlEEKT_Lm3ENS4_16DefaultPtrTraitsElEENS_6detail16IndexBoundsCheckILm4ElEESC_Lm4ESD_lEENS6_INS7_ISA_SB_Lm3ESD_lEESH_SB_Lm4ESD_lEEiiii.numbered_sgpr, 22
	.set _ZN2at6native12_GLOBAL__N_132replication_pad_forward_kernel2dIdEEvN5torch10headeronly6detail27GenericPackedTensorAccessorINS5_14TensorAccessorIN3c108ArrayRefIlEEKT_Lm3ENS4_16DefaultPtrTraitsElEENS_6detail16IndexBoundsCheckILm4ElEESC_Lm4ESD_lEENS6_INS7_ISA_SB_Lm3ESD_lEESH_SB_Lm4ESD_lEEiiii.num_named_barrier, 0
	.set _ZN2at6native12_GLOBAL__N_132replication_pad_forward_kernel2dIdEEvN5torch10headeronly6detail27GenericPackedTensorAccessorINS5_14TensorAccessorIN3c108ArrayRefIlEEKT_Lm3ENS4_16DefaultPtrTraitsElEENS_6detail16IndexBoundsCheckILm4ElEESC_Lm4ESD_lEENS6_INS7_ISA_SB_Lm3ESD_lEESH_SB_Lm4ESD_lEEiiii.private_seg_size, 0
	.set _ZN2at6native12_GLOBAL__N_132replication_pad_forward_kernel2dIdEEvN5torch10headeronly6detail27GenericPackedTensorAccessorINS5_14TensorAccessorIN3c108ArrayRefIlEEKT_Lm3ENS4_16DefaultPtrTraitsElEENS_6detail16IndexBoundsCheckILm4ElEESC_Lm4ESD_lEENS6_INS7_ISA_SB_Lm3ESD_lEESH_SB_Lm4ESD_lEEiiii.uses_vcc, 1
	.set _ZN2at6native12_GLOBAL__N_132replication_pad_forward_kernel2dIdEEvN5torch10headeronly6detail27GenericPackedTensorAccessorINS5_14TensorAccessorIN3c108ArrayRefIlEEKT_Lm3ENS4_16DefaultPtrTraitsElEENS_6detail16IndexBoundsCheckILm4ElEESC_Lm4ESD_lEENS6_INS7_ISA_SB_Lm3ESD_lEESH_SB_Lm4ESD_lEEiiii.uses_flat_scratch, 0
	.set _ZN2at6native12_GLOBAL__N_132replication_pad_forward_kernel2dIdEEvN5torch10headeronly6detail27GenericPackedTensorAccessorINS5_14TensorAccessorIN3c108ArrayRefIlEEKT_Lm3ENS4_16DefaultPtrTraitsElEENS_6detail16IndexBoundsCheckILm4ElEESC_Lm4ESD_lEENS6_INS7_ISA_SB_Lm3ESD_lEESH_SB_Lm4ESD_lEEiiii.has_dyn_sized_stack, 0
	.set _ZN2at6native12_GLOBAL__N_132replication_pad_forward_kernel2dIdEEvN5torch10headeronly6detail27GenericPackedTensorAccessorINS5_14TensorAccessorIN3c108ArrayRefIlEEKT_Lm3ENS4_16DefaultPtrTraitsElEENS_6detail16IndexBoundsCheckILm4ElEESC_Lm4ESD_lEENS6_INS7_ISA_SB_Lm3ESD_lEESH_SB_Lm4ESD_lEEiiii.has_recursion, 0
	.set _ZN2at6native12_GLOBAL__N_132replication_pad_forward_kernel2dIdEEvN5torch10headeronly6detail27GenericPackedTensorAccessorINS5_14TensorAccessorIN3c108ArrayRefIlEEKT_Lm3ENS4_16DefaultPtrTraitsElEENS_6detail16IndexBoundsCheckILm4ElEESC_Lm4ESD_lEENS6_INS7_ISA_SB_Lm3ESD_lEESH_SB_Lm4ESD_lEEiiii.has_indirect_call, 0
	.section	.AMDGPU.csdata,"",@progbits
; Kernel info:
; codeLenInByte = 1268
; TotalNumSgprs: 24
; NumVgprs: 18
; ScratchSize: 0
; MemoryBound: 0
; FloatMode: 240
; IeeeMode: 1
; LDSByteSize: 0 bytes/workgroup (compile time only)
; SGPRBlocks: 0
; VGPRBlocks: 1
; NumSGPRsForWavesPerEU: 24
; NumVGPRsForWavesPerEU: 18
; NamedBarCnt: 0
; Occupancy: 16
; WaveLimiterHint : 1
; COMPUTE_PGM_RSRC2:SCRATCH_EN: 0
; COMPUTE_PGM_RSRC2:USER_SGPR: 2
; COMPUTE_PGM_RSRC2:TRAP_HANDLER: 0
; COMPUTE_PGM_RSRC2:TGID_X_EN: 1
; COMPUTE_PGM_RSRC2:TGID_Y_EN: 1
; COMPUTE_PGM_RSRC2:TGID_Z_EN: 1
; COMPUTE_PGM_RSRC2:TIDIG_COMP_CNT: 0
	.section	.text._ZN2at6native12_GLOBAL__N_132replication_pad_forward_kernel2dIfEEvN5torch10headeronly6detail27GenericPackedTensorAccessorINS5_14TensorAccessorIN3c108ArrayRefIlEEKT_Lm3ENS4_16DefaultPtrTraitsElEENS_6detail16IndexBoundsCheckILm4ElEESC_Lm4ESD_lEENS6_INS7_ISA_SB_Lm3ESD_lEESH_SB_Lm4ESD_lEEiiii,"axG",@progbits,_ZN2at6native12_GLOBAL__N_132replication_pad_forward_kernel2dIfEEvN5torch10headeronly6detail27GenericPackedTensorAccessorINS5_14TensorAccessorIN3c108ArrayRefIlEEKT_Lm3ENS4_16DefaultPtrTraitsElEENS_6detail16IndexBoundsCheckILm4ElEESC_Lm4ESD_lEENS6_INS7_ISA_SB_Lm3ESD_lEESH_SB_Lm4ESD_lEEiiii,comdat
	.globl	_ZN2at6native12_GLOBAL__N_132replication_pad_forward_kernel2dIfEEvN5torch10headeronly6detail27GenericPackedTensorAccessorINS5_14TensorAccessorIN3c108ArrayRefIlEEKT_Lm3ENS4_16DefaultPtrTraitsElEENS_6detail16IndexBoundsCheckILm4ElEESC_Lm4ESD_lEENS6_INS7_ISA_SB_Lm3ESD_lEESH_SB_Lm4ESD_lEEiiii ; -- Begin function _ZN2at6native12_GLOBAL__N_132replication_pad_forward_kernel2dIfEEvN5torch10headeronly6detail27GenericPackedTensorAccessorINS5_14TensorAccessorIN3c108ArrayRefIlEEKT_Lm3ENS4_16DefaultPtrTraitsElEENS_6detail16IndexBoundsCheckILm4ElEESC_Lm4ESD_lEENS6_INS7_ISA_SB_Lm3ESD_lEESH_SB_Lm4ESD_lEEiiii
	.p2align	8
	.type	_ZN2at6native12_GLOBAL__N_132replication_pad_forward_kernel2dIfEEvN5torch10headeronly6detail27GenericPackedTensorAccessorINS5_14TensorAccessorIN3c108ArrayRefIlEEKT_Lm3ENS4_16DefaultPtrTraitsElEENS_6detail16IndexBoundsCheckILm4ElEESC_Lm4ESD_lEENS6_INS7_ISA_SB_Lm3ESD_lEESH_SB_Lm4ESD_lEEiiii,@function
_ZN2at6native12_GLOBAL__N_132replication_pad_forward_kernel2dIfEEvN5torch10headeronly6detail27GenericPackedTensorAccessorINS5_14TensorAccessorIN3c108ArrayRefIlEEKT_Lm3ENS4_16DefaultPtrTraitsElEENS_6detail16IndexBoundsCheckILm4ElEESC_Lm4ESD_lEENS6_INS7_ISA_SB_Lm3ESD_lEESH_SB_Lm4ESD_lEEiiii: ; @_ZN2at6native12_GLOBAL__N_132replication_pad_forward_kernel2dIfEEvN5torch10headeronly6detail27GenericPackedTensorAccessorINS5_14TensorAccessorIN3c108ArrayRefIlEEKT_Lm3ENS4_16DefaultPtrTraitsElEENS_6detail16IndexBoundsCheckILm4ElEESC_Lm4ESD_lEENS6_INS7_ISA_SB_Lm3ESD_lEESH_SB_Lm4ESD_lEEiiii
; %bb.0:
	s_load_b32 s2, s[0:1], 0xac
	s_bfe_u32 s4, ttmp6, 0x4000c
	s_and_b32 s8, ttmp6, 15
	s_add_co_i32 s9, s4, 1
	s_getreg_b32 s3, hwreg(HW_REG_IB_STS2, 6, 4)
	s_mul_i32 s9, ttmp9, s9
	s_load_b128 s[4:7], s[0:1], 0x60
	s_add_co_i32 s8, s8, s9
	s_wait_kmcnt 0x0
	s_and_b32 s2, s2, 0xffff
	s_cmp_eq_u32 s3, 0
	s_cselect_b32 s8, ttmp9, s8
	s_delay_alu instid0(SALU_CYCLE_1) | instskip(SKIP_2) | instid1(VALU_DEP_1)
	v_mad_u32 v0, s8, s2, v0
	s_mul_u64 s[4:5], s[6:7], s[4:5]
	s_mov_b32 s2, exec_lo
	v_ashrrev_i32_e32 v1, 31, v0
	s_delay_alu instid0(VALU_DEP_1)
	v_cmpx_gt_i64_e64 s[4:5], v[0:1]
	s_cbranch_execz .LBB35_6
; %bb.1:
	v_dual_mov_b32 v4, 0 :: v_dual_bitop2_b32 v5, s7, v1 bitop3:0x54
                                        ; implicit-def: $vgpr2_vgpr3
	s_mov_b32 s2, exec_lo
	s_delay_alu instid0(VALU_DEP_1)
	v_cmpx_ne_u64_e32 0, v[4:5]
	s_xor_b32 s10, exec_lo, s2
	s_cbranch_execz .LBB35_3
; %bb.2:
	s_ashr_i32 s4, s7, 31
	s_mov_b32 s19, 0
	s_mov_b32 s5, s4
	v_dual_mov_b32 v9, v4 :: v_dual_ashrrev_i32 v2, 31, v1
	s_add_nc_u64 s[8:9], s[6:7], s[4:5]
	v_mov_b32_e32 v11, v4
	s_xor_b64 s[8:9], s[8:9], s[4:5]
	s_delay_alu instid0(VALU_DEP_2)
	v_mov_b32_e32 v3, v2
	s_cvt_f32_u32 s2, s8
	s_cvt_f32_u32 s5, s9
	s_sub_nc_u64 s[14:15], 0, s[8:9]
	v_mov_b32_e32 v17, v4
	v_add_nc_u64_e32 v[6:7], v[0:1], v[2:3]
	s_fmamk_f32 s2, s5, 0x4f800000, s2
	v_mov_b32_e32 v5, v4
	s_delay_alu instid0(SALU_CYCLE_2) | instskip(NEXT) | instid1(VALU_DEP_2)
	v_s_rcp_f32 s2, s2
	v_xor_b32_e32 v8, v6, v2
	s_delay_alu instid0(VALU_DEP_3) | instskip(SKIP_1) | instid1(TRANS32_DEP_1)
	v_xor_b32_e32 v10, v7, v2
	v_xor_b32_e32 v2, s4, v2
	s_mul_f32 s2, s2, 0x5f7ffffc
	s_delay_alu instid0(SALU_CYCLE_3) | instskip(NEXT) | instid1(SALU_CYCLE_3)
	s_mul_f32 s5, s2, 0x2f800000
	s_trunc_f32 s5, s5
	s_delay_alu instid0(SALU_CYCLE_3) | instskip(SKIP_1) | instid1(SALU_CYCLE_2)
	s_fmamk_f32 s2, s5, 0xcf800000, s2
	s_cvt_u32_f32 s13, s5
	s_cvt_u32_f32 s12, s2
	s_delay_alu instid0(SALU_CYCLE_3) | instskip(NEXT) | instid1(SALU_CYCLE_1)
	s_mul_u64 s[16:17], s[14:15], s[12:13]
	s_mul_hi_u32 s21, s12, s17
	s_mul_i32 s20, s12, s17
	s_mul_hi_u32 s18, s12, s16
	s_mul_i32 s5, s13, s16
	s_add_nc_u64 s[20:21], s[18:19], s[20:21]
	s_mul_hi_u32 s2, s13, s16
	s_mul_hi_u32 s11, s13, s17
	s_add_co_u32 s5, s20, s5
	s_add_co_ci_u32 s18, s21, s2
	s_mul_i32 s16, s13, s17
	s_add_co_ci_u32 s17, s11, 0
	s_delay_alu instid0(SALU_CYCLE_1) | instskip(NEXT) | instid1(SALU_CYCLE_1)
	s_add_nc_u64 s[16:17], s[18:19], s[16:17]
	s_add_co_u32 s12, s12, s16
	s_cselect_b32 s2, -1, 0
	s_delay_alu instid0(SALU_CYCLE_1) | instskip(SKIP_1) | instid1(SALU_CYCLE_1)
	s_cmp_lg_u32 s2, 0
	s_add_co_ci_u32 s13, s13, s17
	s_mul_u64 s[14:15], s[14:15], s[12:13]
	s_delay_alu instid0(SALU_CYCLE_1)
	s_mul_hi_u32 s17, s12, s15
	s_mul_i32 s16, s12, s15
	s_mul_hi_u32 s18, s12, s14
	s_mul_i32 s5, s13, s14
	s_add_nc_u64 s[16:17], s[18:19], s[16:17]
	s_mul_hi_u32 s2, s13, s14
	s_mul_hi_u32 s11, s13, s15
	s_add_co_u32 s5, s16, s5
	s_add_co_ci_u32 s18, s17, s2
	s_mul_i32 s14, s13, s15
	s_add_co_ci_u32 s15, s11, 0
	s_delay_alu instid0(SALU_CYCLE_1) | instskip(NEXT) | instid1(SALU_CYCLE_1)
	s_add_nc_u64 s[14:15], s[18:19], s[14:15]
	s_add_co_u32 s2, s12, s14
	s_cselect_b32 s5, -1, 0
	v_mul_hi_u32 v16, v8, s2
	s_cmp_lg_u32 s5, 0
	s_add_co_ci_u32 s18, s13, s15
	s_mov_b64 s[12:13], 0xffffffff
	v_mul_u64_e32 v[12:13], s[18:19], v[8:9]
	s_and_b64 s[12:13], s[2:3], s[12:13]
	v_mul_u64_e32 v[14:15], s[18:19], v[10:11]
	v_mul_u64_e32 v[6:7], s[12:13], v[10:11]
	s_delay_alu instid0(VALU_DEP_3) | instskip(NEXT) | instid1(VALU_DEP_1)
	v_add_nc_u64_e32 v[12:13], v[16:17], v[12:13]
	v_add_co_u32 v3, vcc_lo, v12, v6
	s_delay_alu instid0(VALU_DEP_2) | instskip(SKIP_1) | instid1(VALU_DEP_1)
	v_add_co_ci_u32_e32 v4, vcc_lo, v13, v7, vcc_lo
	v_add_co_ci_u32_e32 v15, vcc_lo, 0, v15, vcc_lo
	v_add_nc_u64_e32 v[4:5], v[4:5], v[14:15]
	s_delay_alu instid0(VALU_DEP_1) | instskip(NEXT) | instid1(VALU_DEP_1)
	v_mul_u64_e32 v[6:7], s[8:9], v[4:5]
	v_sub_nc_u32_e32 v3, v10, v7
	s_delay_alu instid0(VALU_DEP_2) | instskip(NEXT) | instid1(VALU_DEP_1)
	v_sub_co_u32 v6, vcc_lo, v8, v6
	v_sub_co_ci_u32_e64 v10, null, v10, v7, vcc_lo
	s_delay_alu instid0(VALU_DEP_3) | instskip(NEXT) | instid1(VALU_DEP_3)
	v_subrev_co_ci_u32_e64 v3, null, s9, v3, vcc_lo
	v_sub_co_u32 v8, s2, v6, s8
	s_delay_alu instid0(VALU_DEP_1) | instskip(NEXT) | instid1(VALU_DEP_2)
	v_subrev_co_ci_u32_e64 v3, null, 0, v3, s2
	v_cmp_le_u32_e32 vcc_lo, s8, v8
	v_cndmask_b32_e64 v7, 0, -1, vcc_lo
	s_delay_alu instid0(VALU_DEP_3)
	v_cmp_le_u32_e32 vcc_lo, s9, v3
	v_cndmask_b32_e64 v8, 0, -1, vcc_lo
	v_cmp_le_u32_e32 vcc_lo, s8, v6
	v_cndmask_b32_e64 v11, 0, -1, vcc_lo
	;; [unrolled: 2-line block ×3, first 2 shown]
	v_cmp_eq_u32_e32 vcc_lo, s9, v3
	v_cndmask_b32_e32 v3, v8, v7, vcc_lo
	v_cmp_eq_u32_e32 vcc_lo, s9, v10
	v_add_nc_u64_e32 v[6:7], 2, v[4:5]
	v_add_nc_u64_e32 v[8:9], 1, v[4:5]
	v_cndmask_b32_e32 v10, v12, v11, vcc_lo
	v_cmp_ne_u32_e32 vcc_lo, 0, v3
	s_delay_alu instid0(VALU_DEP_2) | instskip(NEXT) | instid1(VALU_DEP_4)
	v_cmp_ne_u32_e64 s2, 0, v10
	v_dual_cndmask_b32 v6, v8, v6 :: v_dual_cndmask_b32 v3, v9, v7
	s_delay_alu instid0(VALU_DEP_1) | instskip(NEXT) | instid1(VALU_DEP_1)
	v_dual_cndmask_b32 v4, v4, v6, s2 :: v_dual_cndmask_b32 v5, v5, v3, s2
	v_dual_mov_b32 v3, v2 :: v_dual_bitop2_b32 v4, v4, v2 bitop3:0x14
	s_delay_alu instid0(VALU_DEP_2) | instskip(NEXT) | instid1(VALU_DEP_1)
	v_xor_b32_e32 v5, v5, v2
	v_sub_nc_u64_e32 v[2:3], v[4:5], v[2:3]
.LBB35_3:
	s_and_not1_saveexec_b32 s2, s10
	s_cbranch_execz .LBB35_5
; %bb.4:
	v_cvt_f32_u32_e32 v2, s6
	s_sub_co_i32 s4, 0, s6
	s_delay_alu instid0(VALU_DEP_1) | instskip(SKIP_1) | instid1(TRANS32_DEP_1)
	v_rcp_iflag_f32_e32 v2, v2
	v_nop
	v_mul_f32_e32 v2, 0x4f7ffffe, v2
	s_delay_alu instid0(VALU_DEP_1) | instskip(NEXT) | instid1(VALU_DEP_1)
	v_cvt_u32_f32_e32 v2, v2
	v_mul_lo_u32 v3, s4, v2
	s_delay_alu instid0(VALU_DEP_1) | instskip(NEXT) | instid1(VALU_DEP_1)
	v_mul_hi_u32 v3, v2, v3
	v_add_nc_u32_e32 v2, v2, v3
	s_delay_alu instid0(VALU_DEP_1) | instskip(NEXT) | instid1(VALU_DEP_1)
	v_mul_hi_u32 v2, v0, v2
	v_mul_lo_u32 v3, v2, s6
	s_delay_alu instid0(VALU_DEP_1) | instskip(NEXT) | instid1(VALU_DEP_1)
	v_dual_add_nc_u32 v4, 1, v2 :: v_dual_sub_nc_u32 v3, v0, v3
	v_subrev_nc_u32_e32 v5, s6, v3
	v_cmp_le_u32_e32 vcc_lo, s6, v3
	s_delay_alu instid0(VALU_DEP_2) | instskip(NEXT) | instid1(VALU_DEP_1)
	v_dual_cndmask_b32 v3, v3, v5 :: v_dual_cndmask_b32 v2, v2, v4
	v_cmp_le_u32_e32 vcc_lo, s6, v3
	s_delay_alu instid0(VALU_DEP_2) | instskip(NEXT) | instid1(VALU_DEP_1)
	v_dual_mov_b32 v3, 0 :: v_dual_add_nc_u32 v4, 1, v2
	v_cndmask_b32_e32 v2, v2, v4, vcc_lo
.LBB35_5:
	s_or_b32 exec_lo, exec_lo, s2
	s_delay_alu instid0(VALU_DEP_1)
	v_mul_u64_e32 v[4:5], s[6:7], v[2:3]
	s_clause 0x1
	s_load_b128 s[12:15], s[0:1], 0x90
	s_load_b256 s[4:11], s[0:1], 0x18
	s_wait_kmcnt 0x0
	s_bfe_u32 s5, ttmp6, 0x40014
	s_bfe_u32 s16, ttmp6, 0x40010
	s_lshr_b32 s2, ttmp7, 16
	s_and_b32 s20, ttmp7, 0xffff
	s_add_co_i32 s5, s5, 1
	s_add_co_i32 s16, s16, 1
	s_bfe_u32 s7, ttmp6, 0x40008
	s_bfe_u32 s17, ttmp6, 0x40004
	s_mul_i32 s5, s2, s5
	s_mul_i32 s16, s20, s16
	s_add_co_i32 s7, s7, s5
	s_add_co_i32 s5, s17, s16
	s_cmp_eq_u32 s3, 0
	s_load_b128 s[16:19], s[0:1], 0x38
	s_cselect_b32 s5, s20, s5
	s_cselect_b32 s7, s2, s7
	s_sub_co_i32 s3, 0, s12
	s_add_co_i32 s4, s12, s4
	s_max_i32 s3, s3, 0
	s_add_co_i32 s4, s4, -1
	s_add_co_i32 s6, s13, s6
	v_maxmin_i32 v3, s12, v2, s4
	s_max_i32 s4, s12, 0
	s_add_co_i32 s6, s6, -1
	s_sub_co_i32 s3, s3, s4
	s_sub_co_i32 s2, 0, s13
	s_add_co_i32 s12, s15, s7
	s_max_i32 s2, s2, 0
	v_sub_nc_u64_e32 v[0:1], v[0:1], v[4:5]
	v_add_nc_u32_e32 v4, s3, v3
	s_max_i32 s3, s13, 0
	s_add_co_i32 s14, s14, s5
	s_sub_co_i32 s2, s2, s3
	s_ashr_i32 s15, s14, 31
	s_delay_alu instid0(VALU_DEP_2) | instskip(SKIP_3) | instid1(SALU_CYCLE_1)
	v_maxmin_i32 v3, s13, v0, s6
	s_ashr_i32 s13, s12, 31
	s_mul_u64 s[6:7], s[10:11], s[14:15]
	s_mul_u64 s[4:5], s[8:9], s[12:13]
	s_lshl_b64 s[4:5], s[4:5], 2
	v_dual_add_nc_u32 v6, s2, v3 :: v_dual_ashrrev_i32 v5, 31, v4
	s_load_b64 s[2:3], s[0:1], 0x0
	v_ashrrev_i32_e32 v3, 31, v2
	s_delay_alu instid0(VALU_DEP_2) | instskip(SKIP_2) | instid1(VALU_DEP_2)
	v_ashrrev_i32_e32 v7, 31, v6
	s_wait_kmcnt 0x0
	v_mul_u64_e32 v[4:5], s[16:17], v[4:5]
	v_mul_u64_e32 v[6:7], s[18:19], v[6:7]
	s_add_nc_u64 s[2:3], s[2:3], s[4:5]
	s_lshl_b64 s[4:5], s[6:7], 2
	s_delay_alu instid0(SALU_CYCLE_1) | instskip(SKIP_1) | instid1(VALU_DEP_2)
	s_add_nc_u64 s[2:3], s[2:3], s[4:5]
	s_load_b256 s[4:11], s[0:1], 0x70
	v_lshl_add_u64 v[4:5], v[4:5], 2, s[2:3]
	s_wait_xcnt 0x0
	s_load_b64 s[0:1], s[0:1], 0x48
	s_delay_alu instid0(VALU_DEP_1)
	v_lshl_add_u64 v[4:5], v[6:7], 2, v[4:5]
	s_wait_kmcnt 0x0
	v_mul_u64_e32 v[2:3], s[8:9], v[2:3]
	v_mul_u64_e32 v[0:1], s[10:11], v[0:1]
	global_load_b32 v4, v[4:5], off
	s_mul_u64 s[2:3], s[4:5], s[12:13]
	s_mul_u64 s[4:5], s[6:7], s[14:15]
	s_lshl_b64 s[2:3], s[2:3], 2
	s_delay_alu instid0(SALU_CYCLE_1) | instskip(SKIP_1) | instid1(SALU_CYCLE_1)
	s_add_nc_u64 s[0:1], s[0:1], s[2:3]
	s_lshl_b64 s[2:3], s[4:5], 2
	s_add_nc_u64 s[0:1], s[0:1], s[2:3]
	s_delay_alu instid0(SALU_CYCLE_1) | instskip(NEXT) | instid1(VALU_DEP_1)
	v_lshl_add_u64 v[2:3], v[2:3], 2, s[0:1]
	v_lshl_add_u64 v[0:1], v[0:1], 2, v[2:3]
	s_wait_loadcnt 0x0
	global_store_b32 v[0:1], v4, off
.LBB35_6:
	s_endpgm
	.section	.rodata,"a",@progbits
	.p2align	6, 0x0
	.amdhsa_kernel _ZN2at6native12_GLOBAL__N_132replication_pad_forward_kernel2dIfEEvN5torch10headeronly6detail27GenericPackedTensorAccessorINS5_14TensorAccessorIN3c108ArrayRefIlEEKT_Lm3ENS4_16DefaultPtrTraitsElEENS_6detail16IndexBoundsCheckILm4ElEESC_Lm4ESD_lEENS6_INS7_ISA_SB_Lm3ESD_lEESH_SB_Lm4ESD_lEEiiii
		.amdhsa_group_segment_fixed_size 0
		.amdhsa_private_segment_fixed_size 0
		.amdhsa_kernarg_size 416
		.amdhsa_user_sgpr_count 2
		.amdhsa_user_sgpr_dispatch_ptr 0
		.amdhsa_user_sgpr_queue_ptr 0
		.amdhsa_user_sgpr_kernarg_segment_ptr 1
		.amdhsa_user_sgpr_dispatch_id 0
		.amdhsa_user_sgpr_kernarg_preload_length 0
		.amdhsa_user_sgpr_kernarg_preload_offset 0
		.amdhsa_user_sgpr_private_segment_size 0
		.amdhsa_wavefront_size32 1
		.amdhsa_uses_dynamic_stack 0
		.amdhsa_enable_private_segment 0
		.amdhsa_system_sgpr_workgroup_id_x 1
		.amdhsa_system_sgpr_workgroup_id_y 1
		.amdhsa_system_sgpr_workgroup_id_z 1
		.amdhsa_system_sgpr_workgroup_info 0
		.amdhsa_system_vgpr_workitem_id 0
		.amdhsa_next_free_vgpr 18
		.amdhsa_next_free_sgpr 22
		.amdhsa_named_barrier_count 0
		.amdhsa_reserve_vcc 1
		.amdhsa_float_round_mode_32 0
		.amdhsa_float_round_mode_16_64 0
		.amdhsa_float_denorm_mode_32 3
		.amdhsa_float_denorm_mode_16_64 3
		.amdhsa_fp16_overflow 0
		.amdhsa_memory_ordered 1
		.amdhsa_forward_progress 1
		.amdhsa_inst_pref_size 10
		.amdhsa_round_robin_scheduling 0
		.amdhsa_exception_fp_ieee_invalid_op 0
		.amdhsa_exception_fp_denorm_src 0
		.amdhsa_exception_fp_ieee_div_zero 0
		.amdhsa_exception_fp_ieee_overflow 0
		.amdhsa_exception_fp_ieee_underflow 0
		.amdhsa_exception_fp_ieee_inexact 0
		.amdhsa_exception_int_div_zero 0
	.end_amdhsa_kernel
	.section	.text._ZN2at6native12_GLOBAL__N_132replication_pad_forward_kernel2dIfEEvN5torch10headeronly6detail27GenericPackedTensorAccessorINS5_14TensorAccessorIN3c108ArrayRefIlEEKT_Lm3ENS4_16DefaultPtrTraitsElEENS_6detail16IndexBoundsCheckILm4ElEESC_Lm4ESD_lEENS6_INS7_ISA_SB_Lm3ESD_lEESH_SB_Lm4ESD_lEEiiii,"axG",@progbits,_ZN2at6native12_GLOBAL__N_132replication_pad_forward_kernel2dIfEEvN5torch10headeronly6detail27GenericPackedTensorAccessorINS5_14TensorAccessorIN3c108ArrayRefIlEEKT_Lm3ENS4_16DefaultPtrTraitsElEENS_6detail16IndexBoundsCheckILm4ElEESC_Lm4ESD_lEENS6_INS7_ISA_SB_Lm3ESD_lEESH_SB_Lm4ESD_lEEiiii,comdat
.Lfunc_end35:
	.size	_ZN2at6native12_GLOBAL__N_132replication_pad_forward_kernel2dIfEEvN5torch10headeronly6detail27GenericPackedTensorAccessorINS5_14TensorAccessorIN3c108ArrayRefIlEEKT_Lm3ENS4_16DefaultPtrTraitsElEENS_6detail16IndexBoundsCheckILm4ElEESC_Lm4ESD_lEENS6_INS7_ISA_SB_Lm3ESD_lEESH_SB_Lm4ESD_lEEiiii, .Lfunc_end35-_ZN2at6native12_GLOBAL__N_132replication_pad_forward_kernel2dIfEEvN5torch10headeronly6detail27GenericPackedTensorAccessorINS5_14TensorAccessorIN3c108ArrayRefIlEEKT_Lm3ENS4_16DefaultPtrTraitsElEENS_6detail16IndexBoundsCheckILm4ElEESC_Lm4ESD_lEENS6_INS7_ISA_SB_Lm3ESD_lEESH_SB_Lm4ESD_lEEiiii
                                        ; -- End function
	.set _ZN2at6native12_GLOBAL__N_132replication_pad_forward_kernel2dIfEEvN5torch10headeronly6detail27GenericPackedTensorAccessorINS5_14TensorAccessorIN3c108ArrayRefIlEEKT_Lm3ENS4_16DefaultPtrTraitsElEENS_6detail16IndexBoundsCheckILm4ElEESC_Lm4ESD_lEENS6_INS7_ISA_SB_Lm3ESD_lEESH_SB_Lm4ESD_lEEiiii.num_vgpr, 18
	.set _ZN2at6native12_GLOBAL__N_132replication_pad_forward_kernel2dIfEEvN5torch10headeronly6detail27GenericPackedTensorAccessorINS5_14TensorAccessorIN3c108ArrayRefIlEEKT_Lm3ENS4_16DefaultPtrTraitsElEENS_6detail16IndexBoundsCheckILm4ElEESC_Lm4ESD_lEENS6_INS7_ISA_SB_Lm3ESD_lEESH_SB_Lm4ESD_lEEiiii.num_agpr, 0
	.set _ZN2at6native12_GLOBAL__N_132replication_pad_forward_kernel2dIfEEvN5torch10headeronly6detail27GenericPackedTensorAccessorINS5_14TensorAccessorIN3c108ArrayRefIlEEKT_Lm3ENS4_16DefaultPtrTraitsElEENS_6detail16IndexBoundsCheckILm4ElEESC_Lm4ESD_lEENS6_INS7_ISA_SB_Lm3ESD_lEESH_SB_Lm4ESD_lEEiiii.numbered_sgpr, 22
	.set _ZN2at6native12_GLOBAL__N_132replication_pad_forward_kernel2dIfEEvN5torch10headeronly6detail27GenericPackedTensorAccessorINS5_14TensorAccessorIN3c108ArrayRefIlEEKT_Lm3ENS4_16DefaultPtrTraitsElEENS_6detail16IndexBoundsCheckILm4ElEESC_Lm4ESD_lEENS6_INS7_ISA_SB_Lm3ESD_lEESH_SB_Lm4ESD_lEEiiii.num_named_barrier, 0
	.set _ZN2at6native12_GLOBAL__N_132replication_pad_forward_kernel2dIfEEvN5torch10headeronly6detail27GenericPackedTensorAccessorINS5_14TensorAccessorIN3c108ArrayRefIlEEKT_Lm3ENS4_16DefaultPtrTraitsElEENS_6detail16IndexBoundsCheckILm4ElEESC_Lm4ESD_lEENS6_INS7_ISA_SB_Lm3ESD_lEESH_SB_Lm4ESD_lEEiiii.private_seg_size, 0
	.set _ZN2at6native12_GLOBAL__N_132replication_pad_forward_kernel2dIfEEvN5torch10headeronly6detail27GenericPackedTensorAccessorINS5_14TensorAccessorIN3c108ArrayRefIlEEKT_Lm3ENS4_16DefaultPtrTraitsElEENS_6detail16IndexBoundsCheckILm4ElEESC_Lm4ESD_lEENS6_INS7_ISA_SB_Lm3ESD_lEESH_SB_Lm4ESD_lEEiiii.uses_vcc, 1
	.set _ZN2at6native12_GLOBAL__N_132replication_pad_forward_kernel2dIfEEvN5torch10headeronly6detail27GenericPackedTensorAccessorINS5_14TensorAccessorIN3c108ArrayRefIlEEKT_Lm3ENS4_16DefaultPtrTraitsElEENS_6detail16IndexBoundsCheckILm4ElEESC_Lm4ESD_lEENS6_INS7_ISA_SB_Lm3ESD_lEESH_SB_Lm4ESD_lEEiiii.uses_flat_scratch, 0
	.set _ZN2at6native12_GLOBAL__N_132replication_pad_forward_kernel2dIfEEvN5torch10headeronly6detail27GenericPackedTensorAccessorINS5_14TensorAccessorIN3c108ArrayRefIlEEKT_Lm3ENS4_16DefaultPtrTraitsElEENS_6detail16IndexBoundsCheckILm4ElEESC_Lm4ESD_lEENS6_INS7_ISA_SB_Lm3ESD_lEESH_SB_Lm4ESD_lEEiiii.has_dyn_sized_stack, 0
	.set _ZN2at6native12_GLOBAL__N_132replication_pad_forward_kernel2dIfEEvN5torch10headeronly6detail27GenericPackedTensorAccessorINS5_14TensorAccessorIN3c108ArrayRefIlEEKT_Lm3ENS4_16DefaultPtrTraitsElEENS_6detail16IndexBoundsCheckILm4ElEESC_Lm4ESD_lEENS6_INS7_ISA_SB_Lm3ESD_lEESH_SB_Lm4ESD_lEEiiii.has_recursion, 0
	.set _ZN2at6native12_GLOBAL__N_132replication_pad_forward_kernel2dIfEEvN5torch10headeronly6detail27GenericPackedTensorAccessorINS5_14TensorAccessorIN3c108ArrayRefIlEEKT_Lm3ENS4_16DefaultPtrTraitsElEENS_6detail16IndexBoundsCheckILm4ElEESC_Lm4ESD_lEENS6_INS7_ISA_SB_Lm3ESD_lEESH_SB_Lm4ESD_lEEiiii.has_indirect_call, 0
	.section	.AMDGPU.csdata,"",@progbits
; Kernel info:
; codeLenInByte = 1268
; TotalNumSgprs: 24
; NumVgprs: 18
; ScratchSize: 0
; MemoryBound: 0
; FloatMode: 240
; IeeeMode: 1
; LDSByteSize: 0 bytes/workgroup (compile time only)
; SGPRBlocks: 0
; VGPRBlocks: 1
; NumSGPRsForWavesPerEU: 24
; NumVGPRsForWavesPerEU: 18
; NamedBarCnt: 0
; Occupancy: 16
; WaveLimiterHint : 1
; COMPUTE_PGM_RSRC2:SCRATCH_EN: 0
; COMPUTE_PGM_RSRC2:USER_SGPR: 2
; COMPUTE_PGM_RSRC2:TRAP_HANDLER: 0
; COMPUTE_PGM_RSRC2:TGID_X_EN: 1
; COMPUTE_PGM_RSRC2:TGID_Y_EN: 1
; COMPUTE_PGM_RSRC2:TGID_Z_EN: 1
; COMPUTE_PGM_RSRC2:TIDIG_COMP_CNT: 0
	.section	.text._ZN2at6native12_GLOBAL__N_132replication_pad_forward_kernel2dIN3c107complexIdEEEEvN5torch10headeronly6detail27GenericPackedTensorAccessorINS8_14TensorAccessorINS3_8ArrayRefIlEEKT_Lm3ENS7_16DefaultPtrTraitsElEENS_6detail16IndexBoundsCheckILm4ElEESE_Lm4ESF_lEENS9_INSA_ISC_SD_Lm3ESF_lEESJ_SD_Lm4ESF_lEEiiii,"axG",@progbits,_ZN2at6native12_GLOBAL__N_132replication_pad_forward_kernel2dIN3c107complexIdEEEEvN5torch10headeronly6detail27GenericPackedTensorAccessorINS8_14TensorAccessorINS3_8ArrayRefIlEEKT_Lm3ENS7_16DefaultPtrTraitsElEENS_6detail16IndexBoundsCheckILm4ElEESE_Lm4ESF_lEENS9_INSA_ISC_SD_Lm3ESF_lEESJ_SD_Lm4ESF_lEEiiii,comdat
	.globl	_ZN2at6native12_GLOBAL__N_132replication_pad_forward_kernel2dIN3c107complexIdEEEEvN5torch10headeronly6detail27GenericPackedTensorAccessorINS8_14TensorAccessorINS3_8ArrayRefIlEEKT_Lm3ENS7_16DefaultPtrTraitsElEENS_6detail16IndexBoundsCheckILm4ElEESE_Lm4ESF_lEENS9_INSA_ISC_SD_Lm3ESF_lEESJ_SD_Lm4ESF_lEEiiii ; -- Begin function _ZN2at6native12_GLOBAL__N_132replication_pad_forward_kernel2dIN3c107complexIdEEEEvN5torch10headeronly6detail27GenericPackedTensorAccessorINS8_14TensorAccessorINS3_8ArrayRefIlEEKT_Lm3ENS7_16DefaultPtrTraitsElEENS_6detail16IndexBoundsCheckILm4ElEESE_Lm4ESF_lEENS9_INSA_ISC_SD_Lm3ESF_lEESJ_SD_Lm4ESF_lEEiiii
	.p2align	8
	.type	_ZN2at6native12_GLOBAL__N_132replication_pad_forward_kernel2dIN3c107complexIdEEEEvN5torch10headeronly6detail27GenericPackedTensorAccessorINS8_14TensorAccessorINS3_8ArrayRefIlEEKT_Lm3ENS7_16DefaultPtrTraitsElEENS_6detail16IndexBoundsCheckILm4ElEESE_Lm4ESF_lEENS9_INSA_ISC_SD_Lm3ESF_lEESJ_SD_Lm4ESF_lEEiiii,@function
_ZN2at6native12_GLOBAL__N_132replication_pad_forward_kernel2dIN3c107complexIdEEEEvN5torch10headeronly6detail27GenericPackedTensorAccessorINS8_14TensorAccessorINS3_8ArrayRefIlEEKT_Lm3ENS7_16DefaultPtrTraitsElEENS_6detail16IndexBoundsCheckILm4ElEESE_Lm4ESF_lEENS9_INSA_ISC_SD_Lm3ESF_lEESJ_SD_Lm4ESF_lEEiiii: ; @_ZN2at6native12_GLOBAL__N_132replication_pad_forward_kernel2dIN3c107complexIdEEEEvN5torch10headeronly6detail27GenericPackedTensorAccessorINS8_14TensorAccessorINS3_8ArrayRefIlEEKT_Lm3ENS7_16DefaultPtrTraitsElEENS_6detail16IndexBoundsCheckILm4ElEESE_Lm4ESF_lEENS9_INSA_ISC_SD_Lm3ESF_lEESJ_SD_Lm4ESF_lEEiiii
; %bb.0:
	s_load_b32 s2, s[0:1], 0xac
	s_bfe_u32 s4, ttmp6, 0x4000c
	s_and_b32 s8, ttmp6, 15
	s_add_co_i32 s9, s4, 1
	s_getreg_b32 s3, hwreg(HW_REG_IB_STS2, 6, 4)
	s_mul_i32 s9, ttmp9, s9
	s_load_b128 s[4:7], s[0:1], 0x60
	s_add_co_i32 s8, s8, s9
	s_wait_kmcnt 0x0
	s_and_b32 s2, s2, 0xffff
	s_cmp_eq_u32 s3, 0
	s_cselect_b32 s8, ttmp9, s8
	s_delay_alu instid0(SALU_CYCLE_1) | instskip(SKIP_2) | instid1(VALU_DEP_1)
	v_mad_u32 v0, s8, s2, v0
	s_mul_u64 s[4:5], s[6:7], s[4:5]
	s_mov_b32 s2, exec_lo
	v_ashrrev_i32_e32 v1, 31, v0
	s_delay_alu instid0(VALU_DEP_1)
	v_cmpx_gt_i64_e64 s[4:5], v[0:1]
	s_cbranch_execz .LBB36_6
; %bb.1:
	v_dual_mov_b32 v4, 0 :: v_dual_bitop2_b32 v5, s7, v1 bitop3:0x54
                                        ; implicit-def: $vgpr2_vgpr3
	s_mov_b32 s2, exec_lo
	s_delay_alu instid0(VALU_DEP_1)
	v_cmpx_ne_u64_e32 0, v[4:5]
	s_xor_b32 s10, exec_lo, s2
	s_cbranch_execz .LBB36_3
; %bb.2:
	s_ashr_i32 s4, s7, 31
	s_mov_b32 s19, 0
	s_mov_b32 s5, s4
	v_dual_mov_b32 v9, v4 :: v_dual_ashrrev_i32 v2, 31, v1
	s_add_nc_u64 s[8:9], s[6:7], s[4:5]
	v_mov_b32_e32 v11, v4
	s_xor_b64 s[8:9], s[8:9], s[4:5]
	s_delay_alu instid0(VALU_DEP_2)
	v_mov_b32_e32 v3, v2
	s_cvt_f32_u32 s2, s8
	s_cvt_f32_u32 s5, s9
	s_sub_nc_u64 s[14:15], 0, s[8:9]
	v_mov_b32_e32 v17, v4
	v_add_nc_u64_e32 v[6:7], v[0:1], v[2:3]
	s_fmamk_f32 s2, s5, 0x4f800000, s2
	v_mov_b32_e32 v5, v4
	s_delay_alu instid0(SALU_CYCLE_2) | instskip(NEXT) | instid1(VALU_DEP_2)
	v_s_rcp_f32 s2, s2
	v_xor_b32_e32 v8, v6, v2
	s_delay_alu instid0(VALU_DEP_3) | instskip(SKIP_1) | instid1(TRANS32_DEP_1)
	v_xor_b32_e32 v10, v7, v2
	v_xor_b32_e32 v2, s4, v2
	s_mul_f32 s2, s2, 0x5f7ffffc
	s_delay_alu instid0(SALU_CYCLE_3) | instskip(NEXT) | instid1(SALU_CYCLE_3)
	s_mul_f32 s5, s2, 0x2f800000
	s_trunc_f32 s5, s5
	s_delay_alu instid0(SALU_CYCLE_3) | instskip(SKIP_1) | instid1(SALU_CYCLE_2)
	s_fmamk_f32 s2, s5, 0xcf800000, s2
	s_cvt_u32_f32 s13, s5
	s_cvt_u32_f32 s12, s2
	s_delay_alu instid0(SALU_CYCLE_3) | instskip(NEXT) | instid1(SALU_CYCLE_1)
	s_mul_u64 s[16:17], s[14:15], s[12:13]
	s_mul_hi_u32 s21, s12, s17
	s_mul_i32 s20, s12, s17
	s_mul_hi_u32 s18, s12, s16
	s_mul_i32 s5, s13, s16
	s_add_nc_u64 s[20:21], s[18:19], s[20:21]
	s_mul_hi_u32 s2, s13, s16
	s_mul_hi_u32 s11, s13, s17
	s_add_co_u32 s5, s20, s5
	s_add_co_ci_u32 s18, s21, s2
	s_mul_i32 s16, s13, s17
	s_add_co_ci_u32 s17, s11, 0
	s_delay_alu instid0(SALU_CYCLE_1) | instskip(NEXT) | instid1(SALU_CYCLE_1)
	s_add_nc_u64 s[16:17], s[18:19], s[16:17]
	s_add_co_u32 s12, s12, s16
	s_cselect_b32 s2, -1, 0
	s_delay_alu instid0(SALU_CYCLE_1) | instskip(SKIP_1) | instid1(SALU_CYCLE_1)
	s_cmp_lg_u32 s2, 0
	s_add_co_ci_u32 s13, s13, s17
	s_mul_u64 s[14:15], s[14:15], s[12:13]
	s_delay_alu instid0(SALU_CYCLE_1)
	s_mul_hi_u32 s17, s12, s15
	s_mul_i32 s16, s12, s15
	s_mul_hi_u32 s18, s12, s14
	s_mul_i32 s5, s13, s14
	s_add_nc_u64 s[16:17], s[18:19], s[16:17]
	s_mul_hi_u32 s2, s13, s14
	s_mul_hi_u32 s11, s13, s15
	s_add_co_u32 s5, s16, s5
	s_add_co_ci_u32 s18, s17, s2
	s_mul_i32 s14, s13, s15
	s_add_co_ci_u32 s15, s11, 0
	s_delay_alu instid0(SALU_CYCLE_1) | instskip(NEXT) | instid1(SALU_CYCLE_1)
	s_add_nc_u64 s[14:15], s[18:19], s[14:15]
	s_add_co_u32 s2, s12, s14
	s_cselect_b32 s5, -1, 0
	v_mul_hi_u32 v16, v8, s2
	s_cmp_lg_u32 s5, 0
	s_add_co_ci_u32 s18, s13, s15
	s_mov_b64 s[12:13], 0xffffffff
	v_mul_u64_e32 v[12:13], s[18:19], v[8:9]
	s_and_b64 s[12:13], s[2:3], s[12:13]
	v_mul_u64_e32 v[14:15], s[18:19], v[10:11]
	v_mul_u64_e32 v[6:7], s[12:13], v[10:11]
	s_delay_alu instid0(VALU_DEP_3) | instskip(NEXT) | instid1(VALU_DEP_1)
	v_add_nc_u64_e32 v[12:13], v[16:17], v[12:13]
	v_add_co_u32 v3, vcc_lo, v12, v6
	s_delay_alu instid0(VALU_DEP_2) | instskip(SKIP_1) | instid1(VALU_DEP_1)
	v_add_co_ci_u32_e32 v4, vcc_lo, v13, v7, vcc_lo
	v_add_co_ci_u32_e32 v15, vcc_lo, 0, v15, vcc_lo
	v_add_nc_u64_e32 v[4:5], v[4:5], v[14:15]
	s_delay_alu instid0(VALU_DEP_1) | instskip(NEXT) | instid1(VALU_DEP_1)
	v_mul_u64_e32 v[6:7], s[8:9], v[4:5]
	v_sub_nc_u32_e32 v3, v10, v7
	s_delay_alu instid0(VALU_DEP_2) | instskip(NEXT) | instid1(VALU_DEP_1)
	v_sub_co_u32 v6, vcc_lo, v8, v6
	v_sub_co_ci_u32_e64 v10, null, v10, v7, vcc_lo
	s_delay_alu instid0(VALU_DEP_3) | instskip(NEXT) | instid1(VALU_DEP_3)
	v_subrev_co_ci_u32_e64 v3, null, s9, v3, vcc_lo
	v_sub_co_u32 v8, s2, v6, s8
	s_delay_alu instid0(VALU_DEP_1) | instskip(NEXT) | instid1(VALU_DEP_2)
	v_subrev_co_ci_u32_e64 v3, null, 0, v3, s2
	v_cmp_le_u32_e32 vcc_lo, s8, v8
	v_cndmask_b32_e64 v7, 0, -1, vcc_lo
	s_delay_alu instid0(VALU_DEP_3)
	v_cmp_le_u32_e32 vcc_lo, s9, v3
	v_cndmask_b32_e64 v8, 0, -1, vcc_lo
	v_cmp_le_u32_e32 vcc_lo, s8, v6
	v_cndmask_b32_e64 v11, 0, -1, vcc_lo
	;; [unrolled: 2-line block ×3, first 2 shown]
	v_cmp_eq_u32_e32 vcc_lo, s9, v3
	v_cndmask_b32_e32 v3, v8, v7, vcc_lo
	v_cmp_eq_u32_e32 vcc_lo, s9, v10
	v_add_nc_u64_e32 v[6:7], 2, v[4:5]
	v_add_nc_u64_e32 v[8:9], 1, v[4:5]
	v_cndmask_b32_e32 v10, v12, v11, vcc_lo
	v_cmp_ne_u32_e32 vcc_lo, 0, v3
	s_delay_alu instid0(VALU_DEP_2) | instskip(NEXT) | instid1(VALU_DEP_4)
	v_cmp_ne_u32_e64 s2, 0, v10
	v_dual_cndmask_b32 v6, v8, v6 :: v_dual_cndmask_b32 v3, v9, v7
	s_delay_alu instid0(VALU_DEP_1) | instskip(NEXT) | instid1(VALU_DEP_1)
	v_dual_cndmask_b32 v4, v4, v6, s2 :: v_dual_cndmask_b32 v5, v5, v3, s2
	v_dual_mov_b32 v3, v2 :: v_dual_bitop2_b32 v4, v4, v2 bitop3:0x14
	s_delay_alu instid0(VALU_DEP_2) | instskip(NEXT) | instid1(VALU_DEP_1)
	v_xor_b32_e32 v5, v5, v2
	v_sub_nc_u64_e32 v[2:3], v[4:5], v[2:3]
.LBB36_3:
	s_and_not1_saveexec_b32 s2, s10
	s_cbranch_execz .LBB36_5
; %bb.4:
	v_cvt_f32_u32_e32 v2, s6
	s_sub_co_i32 s4, 0, s6
	s_delay_alu instid0(VALU_DEP_1) | instskip(SKIP_1) | instid1(TRANS32_DEP_1)
	v_rcp_iflag_f32_e32 v2, v2
	v_nop
	v_mul_f32_e32 v2, 0x4f7ffffe, v2
	s_delay_alu instid0(VALU_DEP_1) | instskip(NEXT) | instid1(VALU_DEP_1)
	v_cvt_u32_f32_e32 v2, v2
	v_mul_lo_u32 v3, s4, v2
	s_delay_alu instid0(VALU_DEP_1) | instskip(NEXT) | instid1(VALU_DEP_1)
	v_mul_hi_u32 v3, v2, v3
	v_add_nc_u32_e32 v2, v2, v3
	s_delay_alu instid0(VALU_DEP_1) | instskip(NEXT) | instid1(VALU_DEP_1)
	v_mul_hi_u32 v2, v0, v2
	v_mul_lo_u32 v3, v2, s6
	s_delay_alu instid0(VALU_DEP_1) | instskip(NEXT) | instid1(VALU_DEP_1)
	v_dual_add_nc_u32 v4, 1, v2 :: v_dual_sub_nc_u32 v3, v0, v3
	v_subrev_nc_u32_e32 v5, s6, v3
	v_cmp_le_u32_e32 vcc_lo, s6, v3
	s_delay_alu instid0(VALU_DEP_2) | instskip(NEXT) | instid1(VALU_DEP_1)
	v_dual_cndmask_b32 v3, v3, v5 :: v_dual_cndmask_b32 v2, v2, v4
	v_cmp_le_u32_e32 vcc_lo, s6, v3
	s_delay_alu instid0(VALU_DEP_2) | instskip(NEXT) | instid1(VALU_DEP_1)
	v_dual_mov_b32 v3, 0 :: v_dual_add_nc_u32 v4, 1, v2
	v_cndmask_b32_e32 v2, v2, v4, vcc_lo
.LBB36_5:
	s_or_b32 exec_lo, exec_lo, s2
	s_delay_alu instid0(VALU_DEP_1)
	v_mul_u64_e32 v[4:5], s[6:7], v[2:3]
	s_clause 0x1
	s_load_b128 s[12:15], s[0:1], 0x90
	s_load_b256 s[4:11], s[0:1], 0x18
	s_wait_kmcnt 0x0
	s_bfe_u32 s5, ttmp6, 0x40014
	s_bfe_u32 s16, ttmp6, 0x40010
	s_lshr_b32 s2, ttmp7, 16
	s_and_b32 s20, ttmp7, 0xffff
	s_add_co_i32 s5, s5, 1
	s_add_co_i32 s16, s16, 1
	s_bfe_u32 s7, ttmp6, 0x40008
	s_bfe_u32 s17, ttmp6, 0x40004
	s_mul_i32 s5, s2, s5
	s_mul_i32 s16, s20, s16
	s_add_co_i32 s7, s7, s5
	s_add_co_i32 s5, s17, s16
	s_cmp_eq_u32 s3, 0
	s_load_b128 s[16:19], s[0:1], 0x38
	s_cselect_b32 s5, s20, s5
	s_cselect_b32 s7, s2, s7
	s_sub_co_i32 s3, 0, s12
	s_add_co_i32 s4, s12, s4
	s_max_i32 s3, s3, 0
	s_add_co_i32 s4, s4, -1
	s_add_co_i32 s6, s13, s6
	v_maxmin_i32 v3, s12, v2, s4
	s_max_i32 s4, s12, 0
	s_add_co_i32 s6, s6, -1
	s_sub_co_i32 s3, s3, s4
	s_sub_co_i32 s2, 0, s13
	s_add_co_i32 s12, s15, s7
	s_max_i32 s2, s2, 0
	v_sub_nc_u64_e32 v[0:1], v[0:1], v[4:5]
	v_add_nc_u32_e32 v4, s3, v3
	s_max_i32 s3, s13, 0
	s_add_co_i32 s14, s14, s5
	s_sub_co_i32 s2, s2, s3
	s_ashr_i32 s15, s14, 31
	s_delay_alu instid0(VALU_DEP_2) | instskip(SKIP_3) | instid1(SALU_CYCLE_1)
	v_maxmin_i32 v3, s13, v0, s6
	s_ashr_i32 s13, s12, 31
	s_mul_u64 s[6:7], s[10:11], s[14:15]
	s_mul_u64 s[4:5], s[8:9], s[12:13]
	s_lshl_b64 s[4:5], s[4:5], 4
	v_dual_add_nc_u32 v6, s2, v3 :: v_dual_ashrrev_i32 v5, 31, v4
	s_load_b64 s[2:3], s[0:1], 0x0
	v_ashrrev_i32_e32 v3, 31, v2
	s_delay_alu instid0(VALU_DEP_2) | instskip(SKIP_2) | instid1(VALU_DEP_2)
	v_ashrrev_i32_e32 v7, 31, v6
	s_wait_kmcnt 0x0
	v_mul_u64_e32 v[4:5], s[16:17], v[4:5]
	v_mul_u64_e32 v[6:7], s[18:19], v[6:7]
	s_add_nc_u64 s[2:3], s[2:3], s[4:5]
	s_lshl_b64 s[4:5], s[6:7], 4
	s_delay_alu instid0(SALU_CYCLE_1) | instskip(SKIP_1) | instid1(VALU_DEP_2)
	s_add_nc_u64 s[2:3], s[2:3], s[4:5]
	s_load_b256 s[4:11], s[0:1], 0x70
	v_lshl_add_u64 v[4:5], v[4:5], 4, s[2:3]
	s_wait_xcnt 0x0
	s_load_b64 s[0:1], s[0:1], 0x48
	s_delay_alu instid0(VALU_DEP_1)
	v_lshl_add_u64 v[4:5], v[6:7], 4, v[4:5]
	s_wait_kmcnt 0x0
	v_mul_u64_e32 v[2:3], s[8:9], v[2:3]
	v_mul_u64_e32 v[0:1], s[10:11], v[0:1]
	global_load_b128 v[4:7], v[4:5], off
	s_mul_u64 s[2:3], s[4:5], s[12:13]
	s_mul_u64 s[4:5], s[6:7], s[14:15]
	s_lshl_b64 s[2:3], s[2:3], 4
	s_delay_alu instid0(SALU_CYCLE_1) | instskip(SKIP_1) | instid1(SALU_CYCLE_1)
	s_add_nc_u64 s[0:1], s[0:1], s[2:3]
	s_lshl_b64 s[2:3], s[4:5], 4
	s_add_nc_u64 s[0:1], s[0:1], s[2:3]
	s_delay_alu instid0(SALU_CYCLE_1) | instskip(NEXT) | instid1(VALU_DEP_1)
	v_lshl_add_u64 v[2:3], v[2:3], 4, s[0:1]
	v_lshl_add_u64 v[0:1], v[0:1], 4, v[2:3]
	s_wait_loadcnt 0x0
	global_store_b128 v[0:1], v[4:7], off
.LBB36_6:
	s_endpgm
	.section	.rodata,"a",@progbits
	.p2align	6, 0x0
	.amdhsa_kernel _ZN2at6native12_GLOBAL__N_132replication_pad_forward_kernel2dIN3c107complexIdEEEEvN5torch10headeronly6detail27GenericPackedTensorAccessorINS8_14TensorAccessorINS3_8ArrayRefIlEEKT_Lm3ENS7_16DefaultPtrTraitsElEENS_6detail16IndexBoundsCheckILm4ElEESE_Lm4ESF_lEENS9_INSA_ISC_SD_Lm3ESF_lEESJ_SD_Lm4ESF_lEEiiii
		.amdhsa_group_segment_fixed_size 0
		.amdhsa_private_segment_fixed_size 0
		.amdhsa_kernarg_size 416
		.amdhsa_user_sgpr_count 2
		.amdhsa_user_sgpr_dispatch_ptr 0
		.amdhsa_user_sgpr_queue_ptr 0
		.amdhsa_user_sgpr_kernarg_segment_ptr 1
		.amdhsa_user_sgpr_dispatch_id 0
		.amdhsa_user_sgpr_kernarg_preload_length 0
		.amdhsa_user_sgpr_kernarg_preload_offset 0
		.amdhsa_user_sgpr_private_segment_size 0
		.amdhsa_wavefront_size32 1
		.amdhsa_uses_dynamic_stack 0
		.amdhsa_enable_private_segment 0
		.amdhsa_system_sgpr_workgroup_id_x 1
		.amdhsa_system_sgpr_workgroup_id_y 1
		.amdhsa_system_sgpr_workgroup_id_z 1
		.amdhsa_system_sgpr_workgroup_info 0
		.amdhsa_system_vgpr_workitem_id 0
		.amdhsa_next_free_vgpr 18
		.amdhsa_next_free_sgpr 22
		.amdhsa_named_barrier_count 0
		.amdhsa_reserve_vcc 1
		.amdhsa_float_round_mode_32 0
		.amdhsa_float_round_mode_16_64 0
		.amdhsa_float_denorm_mode_32 3
		.amdhsa_float_denorm_mode_16_64 3
		.amdhsa_fp16_overflow 0
		.amdhsa_memory_ordered 1
		.amdhsa_forward_progress 1
		.amdhsa_inst_pref_size 10
		.amdhsa_round_robin_scheduling 0
		.amdhsa_exception_fp_ieee_invalid_op 0
		.amdhsa_exception_fp_denorm_src 0
		.amdhsa_exception_fp_ieee_div_zero 0
		.amdhsa_exception_fp_ieee_overflow 0
		.amdhsa_exception_fp_ieee_underflow 0
		.amdhsa_exception_fp_ieee_inexact 0
		.amdhsa_exception_int_div_zero 0
	.end_amdhsa_kernel
	.section	.text._ZN2at6native12_GLOBAL__N_132replication_pad_forward_kernel2dIN3c107complexIdEEEEvN5torch10headeronly6detail27GenericPackedTensorAccessorINS8_14TensorAccessorINS3_8ArrayRefIlEEKT_Lm3ENS7_16DefaultPtrTraitsElEENS_6detail16IndexBoundsCheckILm4ElEESE_Lm4ESF_lEENS9_INSA_ISC_SD_Lm3ESF_lEESJ_SD_Lm4ESF_lEEiiii,"axG",@progbits,_ZN2at6native12_GLOBAL__N_132replication_pad_forward_kernel2dIN3c107complexIdEEEEvN5torch10headeronly6detail27GenericPackedTensorAccessorINS8_14TensorAccessorINS3_8ArrayRefIlEEKT_Lm3ENS7_16DefaultPtrTraitsElEENS_6detail16IndexBoundsCheckILm4ElEESE_Lm4ESF_lEENS9_INSA_ISC_SD_Lm3ESF_lEESJ_SD_Lm4ESF_lEEiiii,comdat
.Lfunc_end36:
	.size	_ZN2at6native12_GLOBAL__N_132replication_pad_forward_kernel2dIN3c107complexIdEEEEvN5torch10headeronly6detail27GenericPackedTensorAccessorINS8_14TensorAccessorINS3_8ArrayRefIlEEKT_Lm3ENS7_16DefaultPtrTraitsElEENS_6detail16IndexBoundsCheckILm4ElEESE_Lm4ESF_lEENS9_INSA_ISC_SD_Lm3ESF_lEESJ_SD_Lm4ESF_lEEiiii, .Lfunc_end36-_ZN2at6native12_GLOBAL__N_132replication_pad_forward_kernel2dIN3c107complexIdEEEEvN5torch10headeronly6detail27GenericPackedTensorAccessorINS8_14TensorAccessorINS3_8ArrayRefIlEEKT_Lm3ENS7_16DefaultPtrTraitsElEENS_6detail16IndexBoundsCheckILm4ElEESE_Lm4ESF_lEENS9_INSA_ISC_SD_Lm3ESF_lEESJ_SD_Lm4ESF_lEEiiii
                                        ; -- End function
	.set _ZN2at6native12_GLOBAL__N_132replication_pad_forward_kernel2dIN3c107complexIdEEEEvN5torch10headeronly6detail27GenericPackedTensorAccessorINS8_14TensorAccessorINS3_8ArrayRefIlEEKT_Lm3ENS7_16DefaultPtrTraitsElEENS_6detail16IndexBoundsCheckILm4ElEESE_Lm4ESF_lEENS9_INSA_ISC_SD_Lm3ESF_lEESJ_SD_Lm4ESF_lEEiiii.num_vgpr, 18
	.set _ZN2at6native12_GLOBAL__N_132replication_pad_forward_kernel2dIN3c107complexIdEEEEvN5torch10headeronly6detail27GenericPackedTensorAccessorINS8_14TensorAccessorINS3_8ArrayRefIlEEKT_Lm3ENS7_16DefaultPtrTraitsElEENS_6detail16IndexBoundsCheckILm4ElEESE_Lm4ESF_lEENS9_INSA_ISC_SD_Lm3ESF_lEESJ_SD_Lm4ESF_lEEiiii.num_agpr, 0
	.set _ZN2at6native12_GLOBAL__N_132replication_pad_forward_kernel2dIN3c107complexIdEEEEvN5torch10headeronly6detail27GenericPackedTensorAccessorINS8_14TensorAccessorINS3_8ArrayRefIlEEKT_Lm3ENS7_16DefaultPtrTraitsElEENS_6detail16IndexBoundsCheckILm4ElEESE_Lm4ESF_lEENS9_INSA_ISC_SD_Lm3ESF_lEESJ_SD_Lm4ESF_lEEiiii.numbered_sgpr, 22
	.set _ZN2at6native12_GLOBAL__N_132replication_pad_forward_kernel2dIN3c107complexIdEEEEvN5torch10headeronly6detail27GenericPackedTensorAccessorINS8_14TensorAccessorINS3_8ArrayRefIlEEKT_Lm3ENS7_16DefaultPtrTraitsElEENS_6detail16IndexBoundsCheckILm4ElEESE_Lm4ESF_lEENS9_INSA_ISC_SD_Lm3ESF_lEESJ_SD_Lm4ESF_lEEiiii.num_named_barrier, 0
	.set _ZN2at6native12_GLOBAL__N_132replication_pad_forward_kernel2dIN3c107complexIdEEEEvN5torch10headeronly6detail27GenericPackedTensorAccessorINS8_14TensorAccessorINS3_8ArrayRefIlEEKT_Lm3ENS7_16DefaultPtrTraitsElEENS_6detail16IndexBoundsCheckILm4ElEESE_Lm4ESF_lEENS9_INSA_ISC_SD_Lm3ESF_lEESJ_SD_Lm4ESF_lEEiiii.private_seg_size, 0
	.set _ZN2at6native12_GLOBAL__N_132replication_pad_forward_kernel2dIN3c107complexIdEEEEvN5torch10headeronly6detail27GenericPackedTensorAccessorINS8_14TensorAccessorINS3_8ArrayRefIlEEKT_Lm3ENS7_16DefaultPtrTraitsElEENS_6detail16IndexBoundsCheckILm4ElEESE_Lm4ESF_lEENS9_INSA_ISC_SD_Lm3ESF_lEESJ_SD_Lm4ESF_lEEiiii.uses_vcc, 1
	.set _ZN2at6native12_GLOBAL__N_132replication_pad_forward_kernel2dIN3c107complexIdEEEEvN5torch10headeronly6detail27GenericPackedTensorAccessorINS8_14TensorAccessorINS3_8ArrayRefIlEEKT_Lm3ENS7_16DefaultPtrTraitsElEENS_6detail16IndexBoundsCheckILm4ElEESE_Lm4ESF_lEENS9_INSA_ISC_SD_Lm3ESF_lEESJ_SD_Lm4ESF_lEEiiii.uses_flat_scratch, 0
	.set _ZN2at6native12_GLOBAL__N_132replication_pad_forward_kernel2dIN3c107complexIdEEEEvN5torch10headeronly6detail27GenericPackedTensorAccessorINS8_14TensorAccessorINS3_8ArrayRefIlEEKT_Lm3ENS7_16DefaultPtrTraitsElEENS_6detail16IndexBoundsCheckILm4ElEESE_Lm4ESF_lEENS9_INSA_ISC_SD_Lm3ESF_lEESJ_SD_Lm4ESF_lEEiiii.has_dyn_sized_stack, 0
	.set _ZN2at6native12_GLOBAL__N_132replication_pad_forward_kernel2dIN3c107complexIdEEEEvN5torch10headeronly6detail27GenericPackedTensorAccessorINS8_14TensorAccessorINS3_8ArrayRefIlEEKT_Lm3ENS7_16DefaultPtrTraitsElEENS_6detail16IndexBoundsCheckILm4ElEESE_Lm4ESF_lEENS9_INSA_ISC_SD_Lm3ESF_lEESJ_SD_Lm4ESF_lEEiiii.has_recursion, 0
	.set _ZN2at6native12_GLOBAL__N_132replication_pad_forward_kernel2dIN3c107complexIdEEEEvN5torch10headeronly6detail27GenericPackedTensorAccessorINS8_14TensorAccessorINS3_8ArrayRefIlEEKT_Lm3ENS7_16DefaultPtrTraitsElEENS_6detail16IndexBoundsCheckILm4ElEESE_Lm4ESF_lEENS9_INSA_ISC_SD_Lm3ESF_lEESJ_SD_Lm4ESF_lEEiiii.has_indirect_call, 0
	.section	.AMDGPU.csdata,"",@progbits
; Kernel info:
; codeLenInByte = 1268
; TotalNumSgprs: 24
; NumVgprs: 18
; ScratchSize: 0
; MemoryBound: 0
; FloatMode: 240
; IeeeMode: 1
; LDSByteSize: 0 bytes/workgroup (compile time only)
; SGPRBlocks: 0
; VGPRBlocks: 1
; NumSGPRsForWavesPerEU: 24
; NumVGPRsForWavesPerEU: 18
; NamedBarCnt: 0
; Occupancy: 16
; WaveLimiterHint : 1
; COMPUTE_PGM_RSRC2:SCRATCH_EN: 0
; COMPUTE_PGM_RSRC2:USER_SGPR: 2
; COMPUTE_PGM_RSRC2:TRAP_HANDLER: 0
; COMPUTE_PGM_RSRC2:TGID_X_EN: 1
; COMPUTE_PGM_RSRC2:TGID_Y_EN: 1
; COMPUTE_PGM_RSRC2:TGID_Z_EN: 1
; COMPUTE_PGM_RSRC2:TIDIG_COMP_CNT: 0
	.section	.text._ZN2at6native12_GLOBAL__N_132replication_pad_forward_kernel2dIN3c107complexIfEEEEvN5torch10headeronly6detail27GenericPackedTensorAccessorINS8_14TensorAccessorINS3_8ArrayRefIlEEKT_Lm3ENS7_16DefaultPtrTraitsElEENS_6detail16IndexBoundsCheckILm4ElEESE_Lm4ESF_lEENS9_INSA_ISC_SD_Lm3ESF_lEESJ_SD_Lm4ESF_lEEiiii,"axG",@progbits,_ZN2at6native12_GLOBAL__N_132replication_pad_forward_kernel2dIN3c107complexIfEEEEvN5torch10headeronly6detail27GenericPackedTensorAccessorINS8_14TensorAccessorINS3_8ArrayRefIlEEKT_Lm3ENS7_16DefaultPtrTraitsElEENS_6detail16IndexBoundsCheckILm4ElEESE_Lm4ESF_lEENS9_INSA_ISC_SD_Lm3ESF_lEESJ_SD_Lm4ESF_lEEiiii,comdat
	.globl	_ZN2at6native12_GLOBAL__N_132replication_pad_forward_kernel2dIN3c107complexIfEEEEvN5torch10headeronly6detail27GenericPackedTensorAccessorINS8_14TensorAccessorINS3_8ArrayRefIlEEKT_Lm3ENS7_16DefaultPtrTraitsElEENS_6detail16IndexBoundsCheckILm4ElEESE_Lm4ESF_lEENS9_INSA_ISC_SD_Lm3ESF_lEESJ_SD_Lm4ESF_lEEiiii ; -- Begin function _ZN2at6native12_GLOBAL__N_132replication_pad_forward_kernel2dIN3c107complexIfEEEEvN5torch10headeronly6detail27GenericPackedTensorAccessorINS8_14TensorAccessorINS3_8ArrayRefIlEEKT_Lm3ENS7_16DefaultPtrTraitsElEENS_6detail16IndexBoundsCheckILm4ElEESE_Lm4ESF_lEENS9_INSA_ISC_SD_Lm3ESF_lEESJ_SD_Lm4ESF_lEEiiii
	.p2align	8
	.type	_ZN2at6native12_GLOBAL__N_132replication_pad_forward_kernel2dIN3c107complexIfEEEEvN5torch10headeronly6detail27GenericPackedTensorAccessorINS8_14TensorAccessorINS3_8ArrayRefIlEEKT_Lm3ENS7_16DefaultPtrTraitsElEENS_6detail16IndexBoundsCheckILm4ElEESE_Lm4ESF_lEENS9_INSA_ISC_SD_Lm3ESF_lEESJ_SD_Lm4ESF_lEEiiii,@function
_ZN2at6native12_GLOBAL__N_132replication_pad_forward_kernel2dIN3c107complexIfEEEEvN5torch10headeronly6detail27GenericPackedTensorAccessorINS8_14TensorAccessorINS3_8ArrayRefIlEEKT_Lm3ENS7_16DefaultPtrTraitsElEENS_6detail16IndexBoundsCheckILm4ElEESE_Lm4ESF_lEENS9_INSA_ISC_SD_Lm3ESF_lEESJ_SD_Lm4ESF_lEEiiii: ; @_ZN2at6native12_GLOBAL__N_132replication_pad_forward_kernel2dIN3c107complexIfEEEEvN5torch10headeronly6detail27GenericPackedTensorAccessorINS8_14TensorAccessorINS3_8ArrayRefIlEEKT_Lm3ENS7_16DefaultPtrTraitsElEENS_6detail16IndexBoundsCheckILm4ElEESE_Lm4ESF_lEENS9_INSA_ISC_SD_Lm3ESF_lEESJ_SD_Lm4ESF_lEEiiii
; %bb.0:
	s_load_b32 s2, s[0:1], 0xac
	s_bfe_u32 s4, ttmp6, 0x4000c
	s_and_b32 s8, ttmp6, 15
	s_add_co_i32 s9, s4, 1
	s_getreg_b32 s3, hwreg(HW_REG_IB_STS2, 6, 4)
	s_mul_i32 s9, ttmp9, s9
	s_load_b128 s[4:7], s[0:1], 0x60
	s_add_co_i32 s8, s8, s9
	s_wait_kmcnt 0x0
	s_and_b32 s2, s2, 0xffff
	s_cmp_eq_u32 s3, 0
	s_cselect_b32 s8, ttmp9, s8
	s_delay_alu instid0(SALU_CYCLE_1) | instskip(SKIP_2) | instid1(VALU_DEP_1)
	v_mad_u32 v0, s8, s2, v0
	s_mul_u64 s[4:5], s[6:7], s[4:5]
	s_mov_b32 s2, exec_lo
	v_ashrrev_i32_e32 v1, 31, v0
	s_delay_alu instid0(VALU_DEP_1)
	v_cmpx_gt_i64_e64 s[4:5], v[0:1]
	s_cbranch_execz .LBB37_6
; %bb.1:
	v_dual_mov_b32 v4, 0 :: v_dual_bitop2_b32 v5, s7, v1 bitop3:0x54
                                        ; implicit-def: $vgpr2_vgpr3
	s_mov_b32 s2, exec_lo
	s_delay_alu instid0(VALU_DEP_1)
	v_cmpx_ne_u64_e32 0, v[4:5]
	s_xor_b32 s10, exec_lo, s2
	s_cbranch_execz .LBB37_3
; %bb.2:
	s_ashr_i32 s4, s7, 31
	s_mov_b32 s19, 0
	s_mov_b32 s5, s4
	v_dual_mov_b32 v9, v4 :: v_dual_ashrrev_i32 v2, 31, v1
	s_add_nc_u64 s[8:9], s[6:7], s[4:5]
	v_mov_b32_e32 v11, v4
	s_xor_b64 s[8:9], s[8:9], s[4:5]
	s_delay_alu instid0(VALU_DEP_2)
	v_mov_b32_e32 v3, v2
	s_cvt_f32_u32 s2, s8
	s_cvt_f32_u32 s5, s9
	s_sub_nc_u64 s[14:15], 0, s[8:9]
	v_mov_b32_e32 v17, v4
	v_add_nc_u64_e32 v[6:7], v[0:1], v[2:3]
	s_fmamk_f32 s2, s5, 0x4f800000, s2
	v_mov_b32_e32 v5, v4
	s_delay_alu instid0(SALU_CYCLE_2) | instskip(NEXT) | instid1(VALU_DEP_2)
	v_s_rcp_f32 s2, s2
	v_xor_b32_e32 v8, v6, v2
	s_delay_alu instid0(VALU_DEP_3) | instskip(SKIP_1) | instid1(TRANS32_DEP_1)
	v_xor_b32_e32 v10, v7, v2
	v_xor_b32_e32 v2, s4, v2
	s_mul_f32 s2, s2, 0x5f7ffffc
	s_delay_alu instid0(SALU_CYCLE_3) | instskip(NEXT) | instid1(SALU_CYCLE_3)
	s_mul_f32 s5, s2, 0x2f800000
	s_trunc_f32 s5, s5
	s_delay_alu instid0(SALU_CYCLE_3) | instskip(SKIP_1) | instid1(SALU_CYCLE_2)
	s_fmamk_f32 s2, s5, 0xcf800000, s2
	s_cvt_u32_f32 s13, s5
	s_cvt_u32_f32 s12, s2
	s_delay_alu instid0(SALU_CYCLE_3) | instskip(NEXT) | instid1(SALU_CYCLE_1)
	s_mul_u64 s[16:17], s[14:15], s[12:13]
	s_mul_hi_u32 s21, s12, s17
	s_mul_i32 s20, s12, s17
	s_mul_hi_u32 s18, s12, s16
	s_mul_i32 s5, s13, s16
	s_add_nc_u64 s[20:21], s[18:19], s[20:21]
	s_mul_hi_u32 s2, s13, s16
	s_mul_hi_u32 s11, s13, s17
	s_add_co_u32 s5, s20, s5
	s_add_co_ci_u32 s18, s21, s2
	s_mul_i32 s16, s13, s17
	s_add_co_ci_u32 s17, s11, 0
	s_delay_alu instid0(SALU_CYCLE_1) | instskip(NEXT) | instid1(SALU_CYCLE_1)
	s_add_nc_u64 s[16:17], s[18:19], s[16:17]
	s_add_co_u32 s12, s12, s16
	s_cselect_b32 s2, -1, 0
	s_delay_alu instid0(SALU_CYCLE_1) | instskip(SKIP_1) | instid1(SALU_CYCLE_1)
	s_cmp_lg_u32 s2, 0
	s_add_co_ci_u32 s13, s13, s17
	s_mul_u64 s[14:15], s[14:15], s[12:13]
	s_delay_alu instid0(SALU_CYCLE_1)
	s_mul_hi_u32 s17, s12, s15
	s_mul_i32 s16, s12, s15
	s_mul_hi_u32 s18, s12, s14
	s_mul_i32 s5, s13, s14
	s_add_nc_u64 s[16:17], s[18:19], s[16:17]
	s_mul_hi_u32 s2, s13, s14
	s_mul_hi_u32 s11, s13, s15
	s_add_co_u32 s5, s16, s5
	s_add_co_ci_u32 s18, s17, s2
	s_mul_i32 s14, s13, s15
	s_add_co_ci_u32 s15, s11, 0
	s_delay_alu instid0(SALU_CYCLE_1) | instskip(NEXT) | instid1(SALU_CYCLE_1)
	s_add_nc_u64 s[14:15], s[18:19], s[14:15]
	s_add_co_u32 s2, s12, s14
	s_cselect_b32 s5, -1, 0
	v_mul_hi_u32 v16, v8, s2
	s_cmp_lg_u32 s5, 0
	s_add_co_ci_u32 s18, s13, s15
	s_mov_b64 s[12:13], 0xffffffff
	v_mul_u64_e32 v[12:13], s[18:19], v[8:9]
	s_and_b64 s[12:13], s[2:3], s[12:13]
	v_mul_u64_e32 v[14:15], s[18:19], v[10:11]
	v_mul_u64_e32 v[6:7], s[12:13], v[10:11]
	s_delay_alu instid0(VALU_DEP_3) | instskip(NEXT) | instid1(VALU_DEP_1)
	v_add_nc_u64_e32 v[12:13], v[16:17], v[12:13]
	v_add_co_u32 v3, vcc_lo, v12, v6
	s_delay_alu instid0(VALU_DEP_2) | instskip(SKIP_1) | instid1(VALU_DEP_1)
	v_add_co_ci_u32_e32 v4, vcc_lo, v13, v7, vcc_lo
	v_add_co_ci_u32_e32 v15, vcc_lo, 0, v15, vcc_lo
	v_add_nc_u64_e32 v[4:5], v[4:5], v[14:15]
	s_delay_alu instid0(VALU_DEP_1) | instskip(NEXT) | instid1(VALU_DEP_1)
	v_mul_u64_e32 v[6:7], s[8:9], v[4:5]
	v_sub_nc_u32_e32 v3, v10, v7
	s_delay_alu instid0(VALU_DEP_2) | instskip(NEXT) | instid1(VALU_DEP_1)
	v_sub_co_u32 v6, vcc_lo, v8, v6
	v_sub_co_ci_u32_e64 v10, null, v10, v7, vcc_lo
	s_delay_alu instid0(VALU_DEP_3) | instskip(NEXT) | instid1(VALU_DEP_3)
	v_subrev_co_ci_u32_e64 v3, null, s9, v3, vcc_lo
	v_sub_co_u32 v8, s2, v6, s8
	s_delay_alu instid0(VALU_DEP_1) | instskip(NEXT) | instid1(VALU_DEP_2)
	v_subrev_co_ci_u32_e64 v3, null, 0, v3, s2
	v_cmp_le_u32_e32 vcc_lo, s8, v8
	v_cndmask_b32_e64 v7, 0, -1, vcc_lo
	s_delay_alu instid0(VALU_DEP_3)
	v_cmp_le_u32_e32 vcc_lo, s9, v3
	v_cndmask_b32_e64 v8, 0, -1, vcc_lo
	v_cmp_le_u32_e32 vcc_lo, s8, v6
	v_cndmask_b32_e64 v11, 0, -1, vcc_lo
	;; [unrolled: 2-line block ×3, first 2 shown]
	v_cmp_eq_u32_e32 vcc_lo, s9, v3
	v_cndmask_b32_e32 v3, v8, v7, vcc_lo
	v_cmp_eq_u32_e32 vcc_lo, s9, v10
	v_add_nc_u64_e32 v[6:7], 2, v[4:5]
	v_add_nc_u64_e32 v[8:9], 1, v[4:5]
	v_cndmask_b32_e32 v10, v12, v11, vcc_lo
	v_cmp_ne_u32_e32 vcc_lo, 0, v3
	s_delay_alu instid0(VALU_DEP_2) | instskip(NEXT) | instid1(VALU_DEP_4)
	v_cmp_ne_u32_e64 s2, 0, v10
	v_dual_cndmask_b32 v6, v8, v6 :: v_dual_cndmask_b32 v3, v9, v7
	s_delay_alu instid0(VALU_DEP_1) | instskip(NEXT) | instid1(VALU_DEP_1)
	v_dual_cndmask_b32 v4, v4, v6, s2 :: v_dual_cndmask_b32 v5, v5, v3, s2
	v_dual_mov_b32 v3, v2 :: v_dual_bitop2_b32 v4, v4, v2 bitop3:0x14
	s_delay_alu instid0(VALU_DEP_2) | instskip(NEXT) | instid1(VALU_DEP_1)
	v_xor_b32_e32 v5, v5, v2
	v_sub_nc_u64_e32 v[2:3], v[4:5], v[2:3]
.LBB37_3:
	s_and_not1_saveexec_b32 s2, s10
	s_cbranch_execz .LBB37_5
; %bb.4:
	v_cvt_f32_u32_e32 v2, s6
	s_sub_co_i32 s4, 0, s6
	s_delay_alu instid0(VALU_DEP_1) | instskip(SKIP_1) | instid1(TRANS32_DEP_1)
	v_rcp_iflag_f32_e32 v2, v2
	v_nop
	v_mul_f32_e32 v2, 0x4f7ffffe, v2
	s_delay_alu instid0(VALU_DEP_1) | instskip(NEXT) | instid1(VALU_DEP_1)
	v_cvt_u32_f32_e32 v2, v2
	v_mul_lo_u32 v3, s4, v2
	s_delay_alu instid0(VALU_DEP_1) | instskip(NEXT) | instid1(VALU_DEP_1)
	v_mul_hi_u32 v3, v2, v3
	v_add_nc_u32_e32 v2, v2, v3
	s_delay_alu instid0(VALU_DEP_1) | instskip(NEXT) | instid1(VALU_DEP_1)
	v_mul_hi_u32 v2, v0, v2
	v_mul_lo_u32 v3, v2, s6
	s_delay_alu instid0(VALU_DEP_1) | instskip(NEXT) | instid1(VALU_DEP_1)
	v_dual_add_nc_u32 v4, 1, v2 :: v_dual_sub_nc_u32 v3, v0, v3
	v_subrev_nc_u32_e32 v5, s6, v3
	v_cmp_le_u32_e32 vcc_lo, s6, v3
	s_delay_alu instid0(VALU_DEP_2) | instskip(NEXT) | instid1(VALU_DEP_1)
	v_dual_cndmask_b32 v3, v3, v5 :: v_dual_cndmask_b32 v2, v2, v4
	v_cmp_le_u32_e32 vcc_lo, s6, v3
	s_delay_alu instid0(VALU_DEP_2) | instskip(NEXT) | instid1(VALU_DEP_1)
	v_dual_mov_b32 v3, 0 :: v_dual_add_nc_u32 v4, 1, v2
	v_cndmask_b32_e32 v2, v2, v4, vcc_lo
.LBB37_5:
	s_or_b32 exec_lo, exec_lo, s2
	s_delay_alu instid0(VALU_DEP_1)
	v_mul_u64_e32 v[4:5], s[6:7], v[2:3]
	s_clause 0x1
	s_load_b128 s[12:15], s[0:1], 0x90
	s_load_b256 s[4:11], s[0:1], 0x18
	s_wait_kmcnt 0x0
	s_bfe_u32 s5, ttmp6, 0x40014
	s_bfe_u32 s16, ttmp6, 0x40010
	s_lshr_b32 s2, ttmp7, 16
	s_and_b32 s20, ttmp7, 0xffff
	s_add_co_i32 s5, s5, 1
	s_add_co_i32 s16, s16, 1
	s_bfe_u32 s7, ttmp6, 0x40008
	s_bfe_u32 s17, ttmp6, 0x40004
	s_mul_i32 s5, s2, s5
	s_mul_i32 s16, s20, s16
	s_add_co_i32 s7, s7, s5
	s_add_co_i32 s5, s17, s16
	s_cmp_eq_u32 s3, 0
	s_load_b128 s[16:19], s[0:1], 0x38
	s_cselect_b32 s5, s20, s5
	s_cselect_b32 s7, s2, s7
	s_sub_co_i32 s3, 0, s12
	s_add_co_i32 s4, s12, s4
	s_max_i32 s3, s3, 0
	s_add_co_i32 s4, s4, -1
	s_add_co_i32 s6, s13, s6
	v_maxmin_i32 v3, s12, v2, s4
	s_max_i32 s4, s12, 0
	s_add_co_i32 s6, s6, -1
	s_sub_co_i32 s3, s3, s4
	s_sub_co_i32 s2, 0, s13
	s_add_co_i32 s12, s15, s7
	s_max_i32 s2, s2, 0
	v_sub_nc_u64_e32 v[0:1], v[0:1], v[4:5]
	v_add_nc_u32_e32 v4, s3, v3
	s_max_i32 s3, s13, 0
	s_add_co_i32 s14, s14, s5
	s_sub_co_i32 s2, s2, s3
	s_ashr_i32 s15, s14, 31
	s_delay_alu instid0(VALU_DEP_2) | instskip(SKIP_3) | instid1(SALU_CYCLE_1)
	v_maxmin_i32 v3, s13, v0, s6
	s_ashr_i32 s13, s12, 31
	s_mul_u64 s[6:7], s[10:11], s[14:15]
	s_mul_u64 s[4:5], s[8:9], s[12:13]
	s_lshl_b64 s[4:5], s[4:5], 3
	v_dual_add_nc_u32 v6, s2, v3 :: v_dual_ashrrev_i32 v5, 31, v4
	s_load_b64 s[2:3], s[0:1], 0x0
	v_ashrrev_i32_e32 v3, 31, v2
	s_delay_alu instid0(VALU_DEP_2) | instskip(SKIP_2) | instid1(VALU_DEP_2)
	v_ashrrev_i32_e32 v7, 31, v6
	s_wait_kmcnt 0x0
	v_mul_u64_e32 v[4:5], s[16:17], v[4:5]
	v_mul_u64_e32 v[6:7], s[18:19], v[6:7]
	s_add_nc_u64 s[2:3], s[2:3], s[4:5]
	s_lshl_b64 s[4:5], s[6:7], 3
	s_delay_alu instid0(SALU_CYCLE_1) | instskip(SKIP_1) | instid1(VALU_DEP_2)
	s_add_nc_u64 s[2:3], s[2:3], s[4:5]
	s_load_b256 s[4:11], s[0:1], 0x70
	v_lshl_add_u64 v[4:5], v[4:5], 3, s[2:3]
	s_wait_xcnt 0x0
	s_load_b64 s[0:1], s[0:1], 0x48
	s_delay_alu instid0(VALU_DEP_1)
	v_lshl_add_u64 v[4:5], v[6:7], 3, v[4:5]
	s_wait_kmcnt 0x0
	v_mul_u64_e32 v[2:3], s[8:9], v[2:3]
	v_mul_u64_e32 v[0:1], s[10:11], v[0:1]
	global_load_b64 v[4:5], v[4:5], off
	s_mul_u64 s[2:3], s[4:5], s[12:13]
	s_mul_u64 s[4:5], s[6:7], s[14:15]
	s_lshl_b64 s[2:3], s[2:3], 3
	s_delay_alu instid0(SALU_CYCLE_1) | instskip(SKIP_1) | instid1(SALU_CYCLE_1)
	s_add_nc_u64 s[0:1], s[0:1], s[2:3]
	s_lshl_b64 s[2:3], s[4:5], 3
	s_add_nc_u64 s[0:1], s[0:1], s[2:3]
	s_delay_alu instid0(SALU_CYCLE_1) | instskip(NEXT) | instid1(VALU_DEP_1)
	v_lshl_add_u64 v[2:3], v[2:3], 3, s[0:1]
	v_lshl_add_u64 v[0:1], v[0:1], 3, v[2:3]
	s_wait_loadcnt 0x0
	global_store_b64 v[0:1], v[4:5], off
.LBB37_6:
	s_endpgm
	.section	.rodata,"a",@progbits
	.p2align	6, 0x0
	.amdhsa_kernel _ZN2at6native12_GLOBAL__N_132replication_pad_forward_kernel2dIN3c107complexIfEEEEvN5torch10headeronly6detail27GenericPackedTensorAccessorINS8_14TensorAccessorINS3_8ArrayRefIlEEKT_Lm3ENS7_16DefaultPtrTraitsElEENS_6detail16IndexBoundsCheckILm4ElEESE_Lm4ESF_lEENS9_INSA_ISC_SD_Lm3ESF_lEESJ_SD_Lm4ESF_lEEiiii
		.amdhsa_group_segment_fixed_size 0
		.amdhsa_private_segment_fixed_size 0
		.amdhsa_kernarg_size 416
		.amdhsa_user_sgpr_count 2
		.amdhsa_user_sgpr_dispatch_ptr 0
		.amdhsa_user_sgpr_queue_ptr 0
		.amdhsa_user_sgpr_kernarg_segment_ptr 1
		.amdhsa_user_sgpr_dispatch_id 0
		.amdhsa_user_sgpr_kernarg_preload_length 0
		.amdhsa_user_sgpr_kernarg_preload_offset 0
		.amdhsa_user_sgpr_private_segment_size 0
		.amdhsa_wavefront_size32 1
		.amdhsa_uses_dynamic_stack 0
		.amdhsa_enable_private_segment 0
		.amdhsa_system_sgpr_workgroup_id_x 1
		.amdhsa_system_sgpr_workgroup_id_y 1
		.amdhsa_system_sgpr_workgroup_id_z 1
		.amdhsa_system_sgpr_workgroup_info 0
		.amdhsa_system_vgpr_workitem_id 0
		.amdhsa_next_free_vgpr 18
		.amdhsa_next_free_sgpr 22
		.amdhsa_named_barrier_count 0
		.amdhsa_reserve_vcc 1
		.amdhsa_float_round_mode_32 0
		.amdhsa_float_round_mode_16_64 0
		.amdhsa_float_denorm_mode_32 3
		.amdhsa_float_denorm_mode_16_64 3
		.amdhsa_fp16_overflow 0
		.amdhsa_memory_ordered 1
		.amdhsa_forward_progress 1
		.amdhsa_inst_pref_size 10
		.amdhsa_round_robin_scheduling 0
		.amdhsa_exception_fp_ieee_invalid_op 0
		.amdhsa_exception_fp_denorm_src 0
		.amdhsa_exception_fp_ieee_div_zero 0
		.amdhsa_exception_fp_ieee_overflow 0
		.amdhsa_exception_fp_ieee_underflow 0
		.amdhsa_exception_fp_ieee_inexact 0
		.amdhsa_exception_int_div_zero 0
	.end_amdhsa_kernel
	.section	.text._ZN2at6native12_GLOBAL__N_132replication_pad_forward_kernel2dIN3c107complexIfEEEEvN5torch10headeronly6detail27GenericPackedTensorAccessorINS8_14TensorAccessorINS3_8ArrayRefIlEEKT_Lm3ENS7_16DefaultPtrTraitsElEENS_6detail16IndexBoundsCheckILm4ElEESE_Lm4ESF_lEENS9_INSA_ISC_SD_Lm3ESF_lEESJ_SD_Lm4ESF_lEEiiii,"axG",@progbits,_ZN2at6native12_GLOBAL__N_132replication_pad_forward_kernel2dIN3c107complexIfEEEEvN5torch10headeronly6detail27GenericPackedTensorAccessorINS8_14TensorAccessorINS3_8ArrayRefIlEEKT_Lm3ENS7_16DefaultPtrTraitsElEENS_6detail16IndexBoundsCheckILm4ElEESE_Lm4ESF_lEENS9_INSA_ISC_SD_Lm3ESF_lEESJ_SD_Lm4ESF_lEEiiii,comdat
.Lfunc_end37:
	.size	_ZN2at6native12_GLOBAL__N_132replication_pad_forward_kernel2dIN3c107complexIfEEEEvN5torch10headeronly6detail27GenericPackedTensorAccessorINS8_14TensorAccessorINS3_8ArrayRefIlEEKT_Lm3ENS7_16DefaultPtrTraitsElEENS_6detail16IndexBoundsCheckILm4ElEESE_Lm4ESF_lEENS9_INSA_ISC_SD_Lm3ESF_lEESJ_SD_Lm4ESF_lEEiiii, .Lfunc_end37-_ZN2at6native12_GLOBAL__N_132replication_pad_forward_kernel2dIN3c107complexIfEEEEvN5torch10headeronly6detail27GenericPackedTensorAccessorINS8_14TensorAccessorINS3_8ArrayRefIlEEKT_Lm3ENS7_16DefaultPtrTraitsElEENS_6detail16IndexBoundsCheckILm4ElEESE_Lm4ESF_lEENS9_INSA_ISC_SD_Lm3ESF_lEESJ_SD_Lm4ESF_lEEiiii
                                        ; -- End function
	.set _ZN2at6native12_GLOBAL__N_132replication_pad_forward_kernel2dIN3c107complexIfEEEEvN5torch10headeronly6detail27GenericPackedTensorAccessorINS8_14TensorAccessorINS3_8ArrayRefIlEEKT_Lm3ENS7_16DefaultPtrTraitsElEENS_6detail16IndexBoundsCheckILm4ElEESE_Lm4ESF_lEENS9_INSA_ISC_SD_Lm3ESF_lEESJ_SD_Lm4ESF_lEEiiii.num_vgpr, 18
	.set _ZN2at6native12_GLOBAL__N_132replication_pad_forward_kernel2dIN3c107complexIfEEEEvN5torch10headeronly6detail27GenericPackedTensorAccessorINS8_14TensorAccessorINS3_8ArrayRefIlEEKT_Lm3ENS7_16DefaultPtrTraitsElEENS_6detail16IndexBoundsCheckILm4ElEESE_Lm4ESF_lEENS9_INSA_ISC_SD_Lm3ESF_lEESJ_SD_Lm4ESF_lEEiiii.num_agpr, 0
	.set _ZN2at6native12_GLOBAL__N_132replication_pad_forward_kernel2dIN3c107complexIfEEEEvN5torch10headeronly6detail27GenericPackedTensorAccessorINS8_14TensorAccessorINS3_8ArrayRefIlEEKT_Lm3ENS7_16DefaultPtrTraitsElEENS_6detail16IndexBoundsCheckILm4ElEESE_Lm4ESF_lEENS9_INSA_ISC_SD_Lm3ESF_lEESJ_SD_Lm4ESF_lEEiiii.numbered_sgpr, 22
	.set _ZN2at6native12_GLOBAL__N_132replication_pad_forward_kernel2dIN3c107complexIfEEEEvN5torch10headeronly6detail27GenericPackedTensorAccessorINS8_14TensorAccessorINS3_8ArrayRefIlEEKT_Lm3ENS7_16DefaultPtrTraitsElEENS_6detail16IndexBoundsCheckILm4ElEESE_Lm4ESF_lEENS9_INSA_ISC_SD_Lm3ESF_lEESJ_SD_Lm4ESF_lEEiiii.num_named_barrier, 0
	.set _ZN2at6native12_GLOBAL__N_132replication_pad_forward_kernel2dIN3c107complexIfEEEEvN5torch10headeronly6detail27GenericPackedTensorAccessorINS8_14TensorAccessorINS3_8ArrayRefIlEEKT_Lm3ENS7_16DefaultPtrTraitsElEENS_6detail16IndexBoundsCheckILm4ElEESE_Lm4ESF_lEENS9_INSA_ISC_SD_Lm3ESF_lEESJ_SD_Lm4ESF_lEEiiii.private_seg_size, 0
	.set _ZN2at6native12_GLOBAL__N_132replication_pad_forward_kernel2dIN3c107complexIfEEEEvN5torch10headeronly6detail27GenericPackedTensorAccessorINS8_14TensorAccessorINS3_8ArrayRefIlEEKT_Lm3ENS7_16DefaultPtrTraitsElEENS_6detail16IndexBoundsCheckILm4ElEESE_Lm4ESF_lEENS9_INSA_ISC_SD_Lm3ESF_lEESJ_SD_Lm4ESF_lEEiiii.uses_vcc, 1
	.set _ZN2at6native12_GLOBAL__N_132replication_pad_forward_kernel2dIN3c107complexIfEEEEvN5torch10headeronly6detail27GenericPackedTensorAccessorINS8_14TensorAccessorINS3_8ArrayRefIlEEKT_Lm3ENS7_16DefaultPtrTraitsElEENS_6detail16IndexBoundsCheckILm4ElEESE_Lm4ESF_lEENS9_INSA_ISC_SD_Lm3ESF_lEESJ_SD_Lm4ESF_lEEiiii.uses_flat_scratch, 0
	.set _ZN2at6native12_GLOBAL__N_132replication_pad_forward_kernel2dIN3c107complexIfEEEEvN5torch10headeronly6detail27GenericPackedTensorAccessorINS8_14TensorAccessorINS3_8ArrayRefIlEEKT_Lm3ENS7_16DefaultPtrTraitsElEENS_6detail16IndexBoundsCheckILm4ElEESE_Lm4ESF_lEENS9_INSA_ISC_SD_Lm3ESF_lEESJ_SD_Lm4ESF_lEEiiii.has_dyn_sized_stack, 0
	.set _ZN2at6native12_GLOBAL__N_132replication_pad_forward_kernel2dIN3c107complexIfEEEEvN5torch10headeronly6detail27GenericPackedTensorAccessorINS8_14TensorAccessorINS3_8ArrayRefIlEEKT_Lm3ENS7_16DefaultPtrTraitsElEENS_6detail16IndexBoundsCheckILm4ElEESE_Lm4ESF_lEENS9_INSA_ISC_SD_Lm3ESF_lEESJ_SD_Lm4ESF_lEEiiii.has_recursion, 0
	.set _ZN2at6native12_GLOBAL__N_132replication_pad_forward_kernel2dIN3c107complexIfEEEEvN5torch10headeronly6detail27GenericPackedTensorAccessorINS8_14TensorAccessorINS3_8ArrayRefIlEEKT_Lm3ENS7_16DefaultPtrTraitsElEENS_6detail16IndexBoundsCheckILm4ElEESE_Lm4ESF_lEENS9_INSA_ISC_SD_Lm3ESF_lEESJ_SD_Lm4ESF_lEEiiii.has_indirect_call, 0
	.section	.AMDGPU.csdata,"",@progbits
; Kernel info:
; codeLenInByte = 1268
; TotalNumSgprs: 24
; NumVgprs: 18
; ScratchSize: 0
; MemoryBound: 0
; FloatMode: 240
; IeeeMode: 1
; LDSByteSize: 0 bytes/workgroup (compile time only)
; SGPRBlocks: 0
; VGPRBlocks: 1
; NumSGPRsForWavesPerEU: 24
; NumVGPRsForWavesPerEU: 18
; NamedBarCnt: 0
; Occupancy: 16
; WaveLimiterHint : 1
; COMPUTE_PGM_RSRC2:SCRATCH_EN: 0
; COMPUTE_PGM_RSRC2:USER_SGPR: 2
; COMPUTE_PGM_RSRC2:TRAP_HANDLER: 0
; COMPUTE_PGM_RSRC2:TGID_X_EN: 1
; COMPUTE_PGM_RSRC2:TGID_Y_EN: 1
; COMPUTE_PGM_RSRC2:TGID_Z_EN: 1
; COMPUTE_PGM_RSRC2:TIDIG_COMP_CNT: 0
	.section	.text._ZN2at6native12_GLOBAL__N_132replication_pad_forward_kernel2dIN3c104HalfEEEvN5torch10headeronly6detail27GenericPackedTensorAccessorINS7_14TensorAccessorINS3_8ArrayRefIlEEKT_Lm3ENS6_16DefaultPtrTraitsElEENS_6detail16IndexBoundsCheckILm4ElEESD_Lm4ESE_lEENS8_INS9_ISB_SC_Lm3ESE_lEESI_SC_Lm4ESE_lEEiiii,"axG",@progbits,_ZN2at6native12_GLOBAL__N_132replication_pad_forward_kernel2dIN3c104HalfEEEvN5torch10headeronly6detail27GenericPackedTensorAccessorINS7_14TensorAccessorINS3_8ArrayRefIlEEKT_Lm3ENS6_16DefaultPtrTraitsElEENS_6detail16IndexBoundsCheckILm4ElEESD_Lm4ESE_lEENS8_INS9_ISB_SC_Lm3ESE_lEESI_SC_Lm4ESE_lEEiiii,comdat
	.globl	_ZN2at6native12_GLOBAL__N_132replication_pad_forward_kernel2dIN3c104HalfEEEvN5torch10headeronly6detail27GenericPackedTensorAccessorINS7_14TensorAccessorINS3_8ArrayRefIlEEKT_Lm3ENS6_16DefaultPtrTraitsElEENS_6detail16IndexBoundsCheckILm4ElEESD_Lm4ESE_lEENS8_INS9_ISB_SC_Lm3ESE_lEESI_SC_Lm4ESE_lEEiiii ; -- Begin function _ZN2at6native12_GLOBAL__N_132replication_pad_forward_kernel2dIN3c104HalfEEEvN5torch10headeronly6detail27GenericPackedTensorAccessorINS7_14TensorAccessorINS3_8ArrayRefIlEEKT_Lm3ENS6_16DefaultPtrTraitsElEENS_6detail16IndexBoundsCheckILm4ElEESD_Lm4ESE_lEENS8_INS9_ISB_SC_Lm3ESE_lEESI_SC_Lm4ESE_lEEiiii
	.p2align	8
	.type	_ZN2at6native12_GLOBAL__N_132replication_pad_forward_kernel2dIN3c104HalfEEEvN5torch10headeronly6detail27GenericPackedTensorAccessorINS7_14TensorAccessorINS3_8ArrayRefIlEEKT_Lm3ENS6_16DefaultPtrTraitsElEENS_6detail16IndexBoundsCheckILm4ElEESD_Lm4ESE_lEENS8_INS9_ISB_SC_Lm3ESE_lEESI_SC_Lm4ESE_lEEiiii,@function
_ZN2at6native12_GLOBAL__N_132replication_pad_forward_kernel2dIN3c104HalfEEEvN5torch10headeronly6detail27GenericPackedTensorAccessorINS7_14TensorAccessorINS3_8ArrayRefIlEEKT_Lm3ENS6_16DefaultPtrTraitsElEENS_6detail16IndexBoundsCheckILm4ElEESD_Lm4ESE_lEENS8_INS9_ISB_SC_Lm3ESE_lEESI_SC_Lm4ESE_lEEiiii: ; @_ZN2at6native12_GLOBAL__N_132replication_pad_forward_kernel2dIN3c104HalfEEEvN5torch10headeronly6detail27GenericPackedTensorAccessorINS7_14TensorAccessorINS3_8ArrayRefIlEEKT_Lm3ENS6_16DefaultPtrTraitsElEENS_6detail16IndexBoundsCheckILm4ElEESD_Lm4ESE_lEENS8_INS9_ISB_SC_Lm3ESE_lEESI_SC_Lm4ESE_lEEiiii
; %bb.0:
	s_load_b32 s2, s[0:1], 0xac
	s_bfe_u32 s4, ttmp6, 0x4000c
	s_and_b32 s8, ttmp6, 15
	s_add_co_i32 s9, s4, 1
	s_getreg_b32 s3, hwreg(HW_REG_IB_STS2, 6, 4)
	s_mul_i32 s9, ttmp9, s9
	s_load_b128 s[4:7], s[0:1], 0x60
	s_add_co_i32 s8, s8, s9
	s_wait_kmcnt 0x0
	s_and_b32 s2, s2, 0xffff
	s_cmp_eq_u32 s3, 0
	s_cselect_b32 s8, ttmp9, s8
	s_delay_alu instid0(SALU_CYCLE_1) | instskip(SKIP_2) | instid1(VALU_DEP_1)
	v_mad_u32 v0, s8, s2, v0
	s_mul_u64 s[4:5], s[6:7], s[4:5]
	s_mov_b32 s2, exec_lo
	v_ashrrev_i32_e32 v1, 31, v0
	s_delay_alu instid0(VALU_DEP_1)
	v_cmpx_gt_i64_e64 s[4:5], v[0:1]
	s_cbranch_execz .LBB38_6
; %bb.1:
	v_dual_mov_b32 v4, 0 :: v_dual_bitop2_b32 v5, s7, v1 bitop3:0x54
                                        ; implicit-def: $vgpr2_vgpr3
	s_mov_b32 s2, exec_lo
	s_delay_alu instid0(VALU_DEP_1)
	v_cmpx_ne_u64_e32 0, v[4:5]
	s_xor_b32 s10, exec_lo, s2
	s_cbranch_execz .LBB38_3
; %bb.2:
	s_ashr_i32 s4, s7, 31
	s_mov_b32 s19, 0
	s_mov_b32 s5, s4
	v_dual_mov_b32 v9, v4 :: v_dual_ashrrev_i32 v2, 31, v1
	s_add_nc_u64 s[8:9], s[6:7], s[4:5]
	v_mov_b32_e32 v11, v4
	s_xor_b64 s[8:9], s[8:9], s[4:5]
	s_delay_alu instid0(VALU_DEP_2)
	v_mov_b32_e32 v3, v2
	s_cvt_f32_u32 s2, s8
	s_cvt_f32_u32 s5, s9
	s_sub_nc_u64 s[14:15], 0, s[8:9]
	v_mov_b32_e32 v17, v4
	v_add_nc_u64_e32 v[6:7], v[0:1], v[2:3]
	s_fmamk_f32 s2, s5, 0x4f800000, s2
	v_mov_b32_e32 v5, v4
	s_delay_alu instid0(SALU_CYCLE_2) | instskip(NEXT) | instid1(VALU_DEP_2)
	v_s_rcp_f32 s2, s2
	v_xor_b32_e32 v8, v6, v2
	s_delay_alu instid0(VALU_DEP_3) | instskip(SKIP_1) | instid1(TRANS32_DEP_1)
	v_xor_b32_e32 v10, v7, v2
	v_xor_b32_e32 v2, s4, v2
	s_mul_f32 s2, s2, 0x5f7ffffc
	s_delay_alu instid0(SALU_CYCLE_3) | instskip(NEXT) | instid1(SALU_CYCLE_3)
	s_mul_f32 s5, s2, 0x2f800000
	s_trunc_f32 s5, s5
	s_delay_alu instid0(SALU_CYCLE_3) | instskip(SKIP_1) | instid1(SALU_CYCLE_2)
	s_fmamk_f32 s2, s5, 0xcf800000, s2
	s_cvt_u32_f32 s13, s5
	s_cvt_u32_f32 s12, s2
	s_delay_alu instid0(SALU_CYCLE_3) | instskip(NEXT) | instid1(SALU_CYCLE_1)
	s_mul_u64 s[16:17], s[14:15], s[12:13]
	s_mul_hi_u32 s21, s12, s17
	s_mul_i32 s20, s12, s17
	s_mul_hi_u32 s18, s12, s16
	s_mul_i32 s5, s13, s16
	s_add_nc_u64 s[20:21], s[18:19], s[20:21]
	s_mul_hi_u32 s2, s13, s16
	s_mul_hi_u32 s11, s13, s17
	s_add_co_u32 s5, s20, s5
	s_add_co_ci_u32 s18, s21, s2
	s_mul_i32 s16, s13, s17
	s_add_co_ci_u32 s17, s11, 0
	s_delay_alu instid0(SALU_CYCLE_1) | instskip(NEXT) | instid1(SALU_CYCLE_1)
	s_add_nc_u64 s[16:17], s[18:19], s[16:17]
	s_add_co_u32 s12, s12, s16
	s_cselect_b32 s2, -1, 0
	s_delay_alu instid0(SALU_CYCLE_1) | instskip(SKIP_1) | instid1(SALU_CYCLE_1)
	s_cmp_lg_u32 s2, 0
	s_add_co_ci_u32 s13, s13, s17
	s_mul_u64 s[14:15], s[14:15], s[12:13]
	s_delay_alu instid0(SALU_CYCLE_1)
	s_mul_hi_u32 s17, s12, s15
	s_mul_i32 s16, s12, s15
	s_mul_hi_u32 s18, s12, s14
	s_mul_i32 s5, s13, s14
	s_add_nc_u64 s[16:17], s[18:19], s[16:17]
	s_mul_hi_u32 s2, s13, s14
	s_mul_hi_u32 s11, s13, s15
	s_add_co_u32 s5, s16, s5
	s_add_co_ci_u32 s18, s17, s2
	s_mul_i32 s14, s13, s15
	s_add_co_ci_u32 s15, s11, 0
	s_delay_alu instid0(SALU_CYCLE_1) | instskip(NEXT) | instid1(SALU_CYCLE_1)
	s_add_nc_u64 s[14:15], s[18:19], s[14:15]
	s_add_co_u32 s2, s12, s14
	s_cselect_b32 s5, -1, 0
	v_mul_hi_u32 v16, v8, s2
	s_cmp_lg_u32 s5, 0
	s_add_co_ci_u32 s18, s13, s15
	s_mov_b64 s[12:13], 0xffffffff
	v_mul_u64_e32 v[12:13], s[18:19], v[8:9]
	s_and_b64 s[12:13], s[2:3], s[12:13]
	v_mul_u64_e32 v[14:15], s[18:19], v[10:11]
	v_mul_u64_e32 v[6:7], s[12:13], v[10:11]
	s_delay_alu instid0(VALU_DEP_3) | instskip(NEXT) | instid1(VALU_DEP_1)
	v_add_nc_u64_e32 v[12:13], v[16:17], v[12:13]
	v_add_co_u32 v3, vcc_lo, v12, v6
	s_delay_alu instid0(VALU_DEP_2) | instskip(SKIP_1) | instid1(VALU_DEP_1)
	v_add_co_ci_u32_e32 v4, vcc_lo, v13, v7, vcc_lo
	v_add_co_ci_u32_e32 v15, vcc_lo, 0, v15, vcc_lo
	v_add_nc_u64_e32 v[4:5], v[4:5], v[14:15]
	s_delay_alu instid0(VALU_DEP_1) | instskip(NEXT) | instid1(VALU_DEP_1)
	v_mul_u64_e32 v[6:7], s[8:9], v[4:5]
	v_sub_nc_u32_e32 v3, v10, v7
	s_delay_alu instid0(VALU_DEP_2) | instskip(NEXT) | instid1(VALU_DEP_1)
	v_sub_co_u32 v6, vcc_lo, v8, v6
	v_sub_co_ci_u32_e64 v10, null, v10, v7, vcc_lo
	s_delay_alu instid0(VALU_DEP_3) | instskip(NEXT) | instid1(VALU_DEP_3)
	v_subrev_co_ci_u32_e64 v3, null, s9, v3, vcc_lo
	v_sub_co_u32 v8, s2, v6, s8
	s_delay_alu instid0(VALU_DEP_1) | instskip(NEXT) | instid1(VALU_DEP_2)
	v_subrev_co_ci_u32_e64 v3, null, 0, v3, s2
	v_cmp_le_u32_e32 vcc_lo, s8, v8
	v_cndmask_b32_e64 v7, 0, -1, vcc_lo
	s_delay_alu instid0(VALU_DEP_3)
	v_cmp_le_u32_e32 vcc_lo, s9, v3
	v_cndmask_b32_e64 v8, 0, -1, vcc_lo
	v_cmp_le_u32_e32 vcc_lo, s8, v6
	v_cndmask_b32_e64 v11, 0, -1, vcc_lo
	;; [unrolled: 2-line block ×3, first 2 shown]
	v_cmp_eq_u32_e32 vcc_lo, s9, v3
	v_cndmask_b32_e32 v3, v8, v7, vcc_lo
	v_cmp_eq_u32_e32 vcc_lo, s9, v10
	v_add_nc_u64_e32 v[6:7], 2, v[4:5]
	v_add_nc_u64_e32 v[8:9], 1, v[4:5]
	v_cndmask_b32_e32 v10, v12, v11, vcc_lo
	v_cmp_ne_u32_e32 vcc_lo, 0, v3
	s_delay_alu instid0(VALU_DEP_2) | instskip(NEXT) | instid1(VALU_DEP_4)
	v_cmp_ne_u32_e64 s2, 0, v10
	v_dual_cndmask_b32 v6, v8, v6 :: v_dual_cndmask_b32 v3, v9, v7
	s_delay_alu instid0(VALU_DEP_1) | instskip(NEXT) | instid1(VALU_DEP_1)
	v_dual_cndmask_b32 v4, v4, v6, s2 :: v_dual_cndmask_b32 v5, v5, v3, s2
	v_dual_mov_b32 v3, v2 :: v_dual_bitop2_b32 v4, v4, v2 bitop3:0x14
	s_delay_alu instid0(VALU_DEP_2) | instskip(NEXT) | instid1(VALU_DEP_1)
	v_xor_b32_e32 v5, v5, v2
	v_sub_nc_u64_e32 v[2:3], v[4:5], v[2:3]
.LBB38_3:
	s_and_not1_saveexec_b32 s2, s10
	s_cbranch_execz .LBB38_5
; %bb.4:
	v_cvt_f32_u32_e32 v2, s6
	s_sub_co_i32 s4, 0, s6
	s_delay_alu instid0(VALU_DEP_1) | instskip(SKIP_1) | instid1(TRANS32_DEP_1)
	v_rcp_iflag_f32_e32 v2, v2
	v_nop
	v_mul_f32_e32 v2, 0x4f7ffffe, v2
	s_delay_alu instid0(VALU_DEP_1) | instskip(NEXT) | instid1(VALU_DEP_1)
	v_cvt_u32_f32_e32 v2, v2
	v_mul_lo_u32 v3, s4, v2
	s_delay_alu instid0(VALU_DEP_1) | instskip(NEXT) | instid1(VALU_DEP_1)
	v_mul_hi_u32 v3, v2, v3
	v_add_nc_u32_e32 v2, v2, v3
	s_delay_alu instid0(VALU_DEP_1) | instskip(NEXT) | instid1(VALU_DEP_1)
	v_mul_hi_u32 v2, v0, v2
	v_mul_lo_u32 v3, v2, s6
	s_delay_alu instid0(VALU_DEP_1) | instskip(NEXT) | instid1(VALU_DEP_1)
	v_dual_add_nc_u32 v4, 1, v2 :: v_dual_sub_nc_u32 v3, v0, v3
	v_subrev_nc_u32_e32 v5, s6, v3
	v_cmp_le_u32_e32 vcc_lo, s6, v3
	s_delay_alu instid0(VALU_DEP_2) | instskip(NEXT) | instid1(VALU_DEP_1)
	v_dual_cndmask_b32 v3, v3, v5 :: v_dual_cndmask_b32 v2, v2, v4
	v_cmp_le_u32_e32 vcc_lo, s6, v3
	s_delay_alu instid0(VALU_DEP_2) | instskip(NEXT) | instid1(VALU_DEP_1)
	v_dual_mov_b32 v3, 0 :: v_dual_add_nc_u32 v4, 1, v2
	v_cndmask_b32_e32 v2, v2, v4, vcc_lo
.LBB38_5:
	s_or_b32 exec_lo, exec_lo, s2
	s_delay_alu instid0(VALU_DEP_1)
	v_mul_u64_e32 v[4:5], s[6:7], v[2:3]
	s_clause 0x1
	s_load_b128 s[12:15], s[0:1], 0x90
	s_load_b256 s[4:11], s[0:1], 0x18
	s_wait_kmcnt 0x0
	s_bfe_u32 s5, ttmp6, 0x40014
	s_bfe_u32 s16, ttmp6, 0x40010
	s_lshr_b32 s2, ttmp7, 16
	s_and_b32 s20, ttmp7, 0xffff
	s_add_co_i32 s5, s5, 1
	s_add_co_i32 s16, s16, 1
	s_bfe_u32 s7, ttmp6, 0x40008
	s_bfe_u32 s17, ttmp6, 0x40004
	s_mul_i32 s5, s2, s5
	s_mul_i32 s16, s20, s16
	s_add_co_i32 s7, s7, s5
	s_add_co_i32 s5, s17, s16
	s_cmp_eq_u32 s3, 0
	s_load_b128 s[16:19], s[0:1], 0x38
	s_cselect_b32 s5, s20, s5
	s_cselect_b32 s7, s2, s7
	s_sub_co_i32 s3, 0, s12
	s_add_co_i32 s4, s12, s4
	s_max_i32 s3, s3, 0
	s_add_co_i32 s4, s4, -1
	s_add_co_i32 s6, s13, s6
	v_maxmin_i32 v3, s12, v2, s4
	s_max_i32 s4, s12, 0
	s_add_co_i32 s6, s6, -1
	s_sub_co_i32 s3, s3, s4
	s_sub_co_i32 s2, 0, s13
	s_add_co_i32 s12, s15, s7
	s_max_i32 s2, s2, 0
	v_sub_nc_u64_e32 v[0:1], v[0:1], v[4:5]
	v_add_nc_u32_e32 v4, s3, v3
	s_max_i32 s3, s13, 0
	s_add_co_i32 s14, s14, s5
	s_sub_co_i32 s2, s2, s3
	s_ashr_i32 s15, s14, 31
	s_delay_alu instid0(VALU_DEP_2) | instskip(SKIP_3) | instid1(SALU_CYCLE_1)
	v_maxmin_i32 v3, s13, v0, s6
	s_ashr_i32 s13, s12, 31
	s_mul_u64 s[6:7], s[10:11], s[14:15]
	s_mul_u64 s[4:5], s[8:9], s[12:13]
	s_lshl_b64 s[4:5], s[4:5], 1
	v_dual_add_nc_u32 v6, s2, v3 :: v_dual_ashrrev_i32 v5, 31, v4
	s_load_b64 s[2:3], s[0:1], 0x0
	v_ashrrev_i32_e32 v3, 31, v2
	s_delay_alu instid0(VALU_DEP_2) | instskip(SKIP_2) | instid1(VALU_DEP_2)
	v_ashrrev_i32_e32 v7, 31, v6
	s_wait_kmcnt 0x0
	v_mul_u64_e32 v[4:5], s[16:17], v[4:5]
	v_mul_u64_e32 v[6:7], s[18:19], v[6:7]
	s_add_nc_u64 s[2:3], s[2:3], s[4:5]
	s_lshl_b64 s[4:5], s[6:7], 1
	s_delay_alu instid0(SALU_CYCLE_1) | instskip(SKIP_1) | instid1(VALU_DEP_2)
	s_add_nc_u64 s[2:3], s[2:3], s[4:5]
	s_load_b256 s[4:11], s[0:1], 0x70
	v_lshl_add_u64 v[4:5], v[4:5], 1, s[2:3]
	s_wait_xcnt 0x0
	s_load_b64 s[0:1], s[0:1], 0x48
	s_delay_alu instid0(VALU_DEP_1)
	v_lshl_add_u64 v[4:5], v[6:7], 1, v[4:5]
	s_wait_kmcnt 0x0
	v_mul_u64_e32 v[2:3], s[8:9], v[2:3]
	v_mul_u64_e32 v[0:1], s[10:11], v[0:1]
	global_load_u16 v4, v[4:5], off
	s_mul_u64 s[2:3], s[4:5], s[12:13]
	s_mul_u64 s[4:5], s[6:7], s[14:15]
	s_lshl_b64 s[2:3], s[2:3], 1
	s_delay_alu instid0(SALU_CYCLE_1) | instskip(SKIP_1) | instid1(SALU_CYCLE_1)
	s_add_nc_u64 s[0:1], s[0:1], s[2:3]
	s_lshl_b64 s[2:3], s[4:5], 1
	s_add_nc_u64 s[0:1], s[0:1], s[2:3]
	s_delay_alu instid0(SALU_CYCLE_1) | instskip(NEXT) | instid1(VALU_DEP_1)
	v_lshl_add_u64 v[2:3], v[2:3], 1, s[0:1]
	v_lshl_add_u64 v[0:1], v[0:1], 1, v[2:3]
	s_wait_loadcnt 0x0
	global_store_b16 v[0:1], v4, off
.LBB38_6:
	s_endpgm
	.section	.rodata,"a",@progbits
	.p2align	6, 0x0
	.amdhsa_kernel _ZN2at6native12_GLOBAL__N_132replication_pad_forward_kernel2dIN3c104HalfEEEvN5torch10headeronly6detail27GenericPackedTensorAccessorINS7_14TensorAccessorINS3_8ArrayRefIlEEKT_Lm3ENS6_16DefaultPtrTraitsElEENS_6detail16IndexBoundsCheckILm4ElEESD_Lm4ESE_lEENS8_INS9_ISB_SC_Lm3ESE_lEESI_SC_Lm4ESE_lEEiiii
		.amdhsa_group_segment_fixed_size 0
		.amdhsa_private_segment_fixed_size 0
		.amdhsa_kernarg_size 416
		.amdhsa_user_sgpr_count 2
		.amdhsa_user_sgpr_dispatch_ptr 0
		.amdhsa_user_sgpr_queue_ptr 0
		.amdhsa_user_sgpr_kernarg_segment_ptr 1
		.amdhsa_user_sgpr_dispatch_id 0
		.amdhsa_user_sgpr_kernarg_preload_length 0
		.amdhsa_user_sgpr_kernarg_preload_offset 0
		.amdhsa_user_sgpr_private_segment_size 0
		.amdhsa_wavefront_size32 1
		.amdhsa_uses_dynamic_stack 0
		.amdhsa_enable_private_segment 0
		.amdhsa_system_sgpr_workgroup_id_x 1
		.amdhsa_system_sgpr_workgroup_id_y 1
		.amdhsa_system_sgpr_workgroup_id_z 1
		.amdhsa_system_sgpr_workgroup_info 0
		.amdhsa_system_vgpr_workitem_id 0
		.amdhsa_next_free_vgpr 18
		.amdhsa_next_free_sgpr 22
		.amdhsa_named_barrier_count 0
		.amdhsa_reserve_vcc 1
		.amdhsa_float_round_mode_32 0
		.amdhsa_float_round_mode_16_64 0
		.amdhsa_float_denorm_mode_32 3
		.amdhsa_float_denorm_mode_16_64 3
		.amdhsa_fp16_overflow 0
		.amdhsa_memory_ordered 1
		.amdhsa_forward_progress 1
		.amdhsa_inst_pref_size 10
		.amdhsa_round_robin_scheduling 0
		.amdhsa_exception_fp_ieee_invalid_op 0
		.amdhsa_exception_fp_denorm_src 0
		.amdhsa_exception_fp_ieee_div_zero 0
		.amdhsa_exception_fp_ieee_overflow 0
		.amdhsa_exception_fp_ieee_underflow 0
		.amdhsa_exception_fp_ieee_inexact 0
		.amdhsa_exception_int_div_zero 0
	.end_amdhsa_kernel
	.section	.text._ZN2at6native12_GLOBAL__N_132replication_pad_forward_kernel2dIN3c104HalfEEEvN5torch10headeronly6detail27GenericPackedTensorAccessorINS7_14TensorAccessorINS3_8ArrayRefIlEEKT_Lm3ENS6_16DefaultPtrTraitsElEENS_6detail16IndexBoundsCheckILm4ElEESD_Lm4ESE_lEENS8_INS9_ISB_SC_Lm3ESE_lEESI_SC_Lm4ESE_lEEiiii,"axG",@progbits,_ZN2at6native12_GLOBAL__N_132replication_pad_forward_kernel2dIN3c104HalfEEEvN5torch10headeronly6detail27GenericPackedTensorAccessorINS7_14TensorAccessorINS3_8ArrayRefIlEEKT_Lm3ENS6_16DefaultPtrTraitsElEENS_6detail16IndexBoundsCheckILm4ElEESD_Lm4ESE_lEENS8_INS9_ISB_SC_Lm3ESE_lEESI_SC_Lm4ESE_lEEiiii,comdat
.Lfunc_end38:
	.size	_ZN2at6native12_GLOBAL__N_132replication_pad_forward_kernel2dIN3c104HalfEEEvN5torch10headeronly6detail27GenericPackedTensorAccessorINS7_14TensorAccessorINS3_8ArrayRefIlEEKT_Lm3ENS6_16DefaultPtrTraitsElEENS_6detail16IndexBoundsCheckILm4ElEESD_Lm4ESE_lEENS8_INS9_ISB_SC_Lm3ESE_lEESI_SC_Lm4ESE_lEEiiii, .Lfunc_end38-_ZN2at6native12_GLOBAL__N_132replication_pad_forward_kernel2dIN3c104HalfEEEvN5torch10headeronly6detail27GenericPackedTensorAccessorINS7_14TensorAccessorINS3_8ArrayRefIlEEKT_Lm3ENS6_16DefaultPtrTraitsElEENS_6detail16IndexBoundsCheckILm4ElEESD_Lm4ESE_lEENS8_INS9_ISB_SC_Lm3ESE_lEESI_SC_Lm4ESE_lEEiiii
                                        ; -- End function
	.set _ZN2at6native12_GLOBAL__N_132replication_pad_forward_kernel2dIN3c104HalfEEEvN5torch10headeronly6detail27GenericPackedTensorAccessorINS7_14TensorAccessorINS3_8ArrayRefIlEEKT_Lm3ENS6_16DefaultPtrTraitsElEENS_6detail16IndexBoundsCheckILm4ElEESD_Lm4ESE_lEENS8_INS9_ISB_SC_Lm3ESE_lEESI_SC_Lm4ESE_lEEiiii.num_vgpr, 18
	.set _ZN2at6native12_GLOBAL__N_132replication_pad_forward_kernel2dIN3c104HalfEEEvN5torch10headeronly6detail27GenericPackedTensorAccessorINS7_14TensorAccessorINS3_8ArrayRefIlEEKT_Lm3ENS6_16DefaultPtrTraitsElEENS_6detail16IndexBoundsCheckILm4ElEESD_Lm4ESE_lEENS8_INS9_ISB_SC_Lm3ESE_lEESI_SC_Lm4ESE_lEEiiii.num_agpr, 0
	.set _ZN2at6native12_GLOBAL__N_132replication_pad_forward_kernel2dIN3c104HalfEEEvN5torch10headeronly6detail27GenericPackedTensorAccessorINS7_14TensorAccessorINS3_8ArrayRefIlEEKT_Lm3ENS6_16DefaultPtrTraitsElEENS_6detail16IndexBoundsCheckILm4ElEESD_Lm4ESE_lEENS8_INS9_ISB_SC_Lm3ESE_lEESI_SC_Lm4ESE_lEEiiii.numbered_sgpr, 22
	.set _ZN2at6native12_GLOBAL__N_132replication_pad_forward_kernel2dIN3c104HalfEEEvN5torch10headeronly6detail27GenericPackedTensorAccessorINS7_14TensorAccessorINS3_8ArrayRefIlEEKT_Lm3ENS6_16DefaultPtrTraitsElEENS_6detail16IndexBoundsCheckILm4ElEESD_Lm4ESE_lEENS8_INS9_ISB_SC_Lm3ESE_lEESI_SC_Lm4ESE_lEEiiii.num_named_barrier, 0
	.set _ZN2at6native12_GLOBAL__N_132replication_pad_forward_kernel2dIN3c104HalfEEEvN5torch10headeronly6detail27GenericPackedTensorAccessorINS7_14TensorAccessorINS3_8ArrayRefIlEEKT_Lm3ENS6_16DefaultPtrTraitsElEENS_6detail16IndexBoundsCheckILm4ElEESD_Lm4ESE_lEENS8_INS9_ISB_SC_Lm3ESE_lEESI_SC_Lm4ESE_lEEiiii.private_seg_size, 0
	.set _ZN2at6native12_GLOBAL__N_132replication_pad_forward_kernel2dIN3c104HalfEEEvN5torch10headeronly6detail27GenericPackedTensorAccessorINS7_14TensorAccessorINS3_8ArrayRefIlEEKT_Lm3ENS6_16DefaultPtrTraitsElEENS_6detail16IndexBoundsCheckILm4ElEESD_Lm4ESE_lEENS8_INS9_ISB_SC_Lm3ESE_lEESI_SC_Lm4ESE_lEEiiii.uses_vcc, 1
	.set _ZN2at6native12_GLOBAL__N_132replication_pad_forward_kernel2dIN3c104HalfEEEvN5torch10headeronly6detail27GenericPackedTensorAccessorINS7_14TensorAccessorINS3_8ArrayRefIlEEKT_Lm3ENS6_16DefaultPtrTraitsElEENS_6detail16IndexBoundsCheckILm4ElEESD_Lm4ESE_lEENS8_INS9_ISB_SC_Lm3ESE_lEESI_SC_Lm4ESE_lEEiiii.uses_flat_scratch, 0
	.set _ZN2at6native12_GLOBAL__N_132replication_pad_forward_kernel2dIN3c104HalfEEEvN5torch10headeronly6detail27GenericPackedTensorAccessorINS7_14TensorAccessorINS3_8ArrayRefIlEEKT_Lm3ENS6_16DefaultPtrTraitsElEENS_6detail16IndexBoundsCheckILm4ElEESD_Lm4ESE_lEENS8_INS9_ISB_SC_Lm3ESE_lEESI_SC_Lm4ESE_lEEiiii.has_dyn_sized_stack, 0
	.set _ZN2at6native12_GLOBAL__N_132replication_pad_forward_kernel2dIN3c104HalfEEEvN5torch10headeronly6detail27GenericPackedTensorAccessorINS7_14TensorAccessorINS3_8ArrayRefIlEEKT_Lm3ENS6_16DefaultPtrTraitsElEENS_6detail16IndexBoundsCheckILm4ElEESD_Lm4ESE_lEENS8_INS9_ISB_SC_Lm3ESE_lEESI_SC_Lm4ESE_lEEiiii.has_recursion, 0
	.set _ZN2at6native12_GLOBAL__N_132replication_pad_forward_kernel2dIN3c104HalfEEEvN5torch10headeronly6detail27GenericPackedTensorAccessorINS7_14TensorAccessorINS3_8ArrayRefIlEEKT_Lm3ENS6_16DefaultPtrTraitsElEENS_6detail16IndexBoundsCheckILm4ElEESD_Lm4ESE_lEENS8_INS9_ISB_SC_Lm3ESE_lEESI_SC_Lm4ESE_lEEiiii.has_indirect_call, 0
	.section	.AMDGPU.csdata,"",@progbits
; Kernel info:
; codeLenInByte = 1268
; TotalNumSgprs: 24
; NumVgprs: 18
; ScratchSize: 0
; MemoryBound: 0
; FloatMode: 240
; IeeeMode: 1
; LDSByteSize: 0 bytes/workgroup (compile time only)
; SGPRBlocks: 0
; VGPRBlocks: 1
; NumSGPRsForWavesPerEU: 24
; NumVGPRsForWavesPerEU: 18
; NamedBarCnt: 0
; Occupancy: 16
; WaveLimiterHint : 1
; COMPUTE_PGM_RSRC2:SCRATCH_EN: 0
; COMPUTE_PGM_RSRC2:USER_SGPR: 2
; COMPUTE_PGM_RSRC2:TRAP_HANDLER: 0
; COMPUTE_PGM_RSRC2:TGID_X_EN: 1
; COMPUTE_PGM_RSRC2:TGID_Y_EN: 1
; COMPUTE_PGM_RSRC2:TGID_Z_EN: 1
; COMPUTE_PGM_RSRC2:TIDIG_COMP_CNT: 0
	.section	.text._ZN2at6native12_GLOBAL__N_132replication_pad_forward_kernel2dIN3c108BFloat16EEEvN5torch10headeronly6detail27GenericPackedTensorAccessorINS7_14TensorAccessorINS3_8ArrayRefIlEEKT_Lm3ENS6_16DefaultPtrTraitsElEENS_6detail16IndexBoundsCheckILm4ElEESD_Lm4ESE_lEENS8_INS9_ISB_SC_Lm3ESE_lEESI_SC_Lm4ESE_lEEiiii,"axG",@progbits,_ZN2at6native12_GLOBAL__N_132replication_pad_forward_kernel2dIN3c108BFloat16EEEvN5torch10headeronly6detail27GenericPackedTensorAccessorINS7_14TensorAccessorINS3_8ArrayRefIlEEKT_Lm3ENS6_16DefaultPtrTraitsElEENS_6detail16IndexBoundsCheckILm4ElEESD_Lm4ESE_lEENS8_INS9_ISB_SC_Lm3ESE_lEESI_SC_Lm4ESE_lEEiiii,comdat
	.globl	_ZN2at6native12_GLOBAL__N_132replication_pad_forward_kernel2dIN3c108BFloat16EEEvN5torch10headeronly6detail27GenericPackedTensorAccessorINS7_14TensorAccessorINS3_8ArrayRefIlEEKT_Lm3ENS6_16DefaultPtrTraitsElEENS_6detail16IndexBoundsCheckILm4ElEESD_Lm4ESE_lEENS8_INS9_ISB_SC_Lm3ESE_lEESI_SC_Lm4ESE_lEEiiii ; -- Begin function _ZN2at6native12_GLOBAL__N_132replication_pad_forward_kernel2dIN3c108BFloat16EEEvN5torch10headeronly6detail27GenericPackedTensorAccessorINS7_14TensorAccessorINS3_8ArrayRefIlEEKT_Lm3ENS6_16DefaultPtrTraitsElEENS_6detail16IndexBoundsCheckILm4ElEESD_Lm4ESE_lEENS8_INS9_ISB_SC_Lm3ESE_lEESI_SC_Lm4ESE_lEEiiii
	.p2align	8
	.type	_ZN2at6native12_GLOBAL__N_132replication_pad_forward_kernel2dIN3c108BFloat16EEEvN5torch10headeronly6detail27GenericPackedTensorAccessorINS7_14TensorAccessorINS3_8ArrayRefIlEEKT_Lm3ENS6_16DefaultPtrTraitsElEENS_6detail16IndexBoundsCheckILm4ElEESD_Lm4ESE_lEENS8_INS9_ISB_SC_Lm3ESE_lEESI_SC_Lm4ESE_lEEiiii,@function
_ZN2at6native12_GLOBAL__N_132replication_pad_forward_kernel2dIN3c108BFloat16EEEvN5torch10headeronly6detail27GenericPackedTensorAccessorINS7_14TensorAccessorINS3_8ArrayRefIlEEKT_Lm3ENS6_16DefaultPtrTraitsElEENS_6detail16IndexBoundsCheckILm4ElEESD_Lm4ESE_lEENS8_INS9_ISB_SC_Lm3ESE_lEESI_SC_Lm4ESE_lEEiiii: ; @_ZN2at6native12_GLOBAL__N_132replication_pad_forward_kernel2dIN3c108BFloat16EEEvN5torch10headeronly6detail27GenericPackedTensorAccessorINS7_14TensorAccessorINS3_8ArrayRefIlEEKT_Lm3ENS6_16DefaultPtrTraitsElEENS_6detail16IndexBoundsCheckILm4ElEESD_Lm4ESE_lEENS8_INS9_ISB_SC_Lm3ESE_lEESI_SC_Lm4ESE_lEEiiii
; %bb.0:
	s_load_b32 s2, s[0:1], 0xac
	s_bfe_u32 s4, ttmp6, 0x4000c
	s_and_b32 s8, ttmp6, 15
	s_add_co_i32 s9, s4, 1
	s_getreg_b32 s3, hwreg(HW_REG_IB_STS2, 6, 4)
	s_mul_i32 s9, ttmp9, s9
	s_load_b128 s[4:7], s[0:1], 0x60
	s_add_co_i32 s8, s8, s9
	s_wait_kmcnt 0x0
	s_and_b32 s2, s2, 0xffff
	s_cmp_eq_u32 s3, 0
	s_cselect_b32 s8, ttmp9, s8
	s_delay_alu instid0(SALU_CYCLE_1) | instskip(SKIP_2) | instid1(VALU_DEP_1)
	v_mad_u32 v0, s8, s2, v0
	s_mul_u64 s[4:5], s[6:7], s[4:5]
	s_mov_b32 s2, exec_lo
	v_ashrrev_i32_e32 v1, 31, v0
	s_delay_alu instid0(VALU_DEP_1)
	v_cmpx_gt_i64_e64 s[4:5], v[0:1]
	s_cbranch_execz .LBB39_6
; %bb.1:
	v_dual_mov_b32 v4, 0 :: v_dual_bitop2_b32 v5, s7, v1 bitop3:0x54
                                        ; implicit-def: $vgpr2_vgpr3
	s_mov_b32 s2, exec_lo
	s_delay_alu instid0(VALU_DEP_1)
	v_cmpx_ne_u64_e32 0, v[4:5]
	s_xor_b32 s10, exec_lo, s2
	s_cbranch_execz .LBB39_3
; %bb.2:
	s_ashr_i32 s4, s7, 31
	s_mov_b32 s19, 0
	s_mov_b32 s5, s4
	v_dual_mov_b32 v9, v4 :: v_dual_ashrrev_i32 v2, 31, v1
	s_add_nc_u64 s[8:9], s[6:7], s[4:5]
	v_mov_b32_e32 v11, v4
	s_xor_b64 s[8:9], s[8:9], s[4:5]
	s_delay_alu instid0(VALU_DEP_2)
	v_mov_b32_e32 v3, v2
	s_cvt_f32_u32 s2, s8
	s_cvt_f32_u32 s5, s9
	s_sub_nc_u64 s[14:15], 0, s[8:9]
	v_mov_b32_e32 v17, v4
	v_add_nc_u64_e32 v[6:7], v[0:1], v[2:3]
	s_fmamk_f32 s2, s5, 0x4f800000, s2
	v_mov_b32_e32 v5, v4
	s_delay_alu instid0(SALU_CYCLE_2) | instskip(NEXT) | instid1(VALU_DEP_2)
	v_s_rcp_f32 s2, s2
	v_xor_b32_e32 v8, v6, v2
	s_delay_alu instid0(VALU_DEP_3) | instskip(SKIP_1) | instid1(TRANS32_DEP_1)
	v_xor_b32_e32 v10, v7, v2
	v_xor_b32_e32 v2, s4, v2
	s_mul_f32 s2, s2, 0x5f7ffffc
	s_delay_alu instid0(SALU_CYCLE_3) | instskip(NEXT) | instid1(SALU_CYCLE_3)
	s_mul_f32 s5, s2, 0x2f800000
	s_trunc_f32 s5, s5
	s_delay_alu instid0(SALU_CYCLE_3) | instskip(SKIP_1) | instid1(SALU_CYCLE_2)
	s_fmamk_f32 s2, s5, 0xcf800000, s2
	s_cvt_u32_f32 s13, s5
	s_cvt_u32_f32 s12, s2
	s_delay_alu instid0(SALU_CYCLE_3) | instskip(NEXT) | instid1(SALU_CYCLE_1)
	s_mul_u64 s[16:17], s[14:15], s[12:13]
	s_mul_hi_u32 s21, s12, s17
	s_mul_i32 s20, s12, s17
	s_mul_hi_u32 s18, s12, s16
	s_mul_i32 s5, s13, s16
	s_add_nc_u64 s[20:21], s[18:19], s[20:21]
	s_mul_hi_u32 s2, s13, s16
	s_mul_hi_u32 s11, s13, s17
	s_add_co_u32 s5, s20, s5
	s_add_co_ci_u32 s18, s21, s2
	s_mul_i32 s16, s13, s17
	s_add_co_ci_u32 s17, s11, 0
	s_delay_alu instid0(SALU_CYCLE_1) | instskip(NEXT) | instid1(SALU_CYCLE_1)
	s_add_nc_u64 s[16:17], s[18:19], s[16:17]
	s_add_co_u32 s12, s12, s16
	s_cselect_b32 s2, -1, 0
	s_delay_alu instid0(SALU_CYCLE_1) | instskip(SKIP_1) | instid1(SALU_CYCLE_1)
	s_cmp_lg_u32 s2, 0
	s_add_co_ci_u32 s13, s13, s17
	s_mul_u64 s[14:15], s[14:15], s[12:13]
	s_delay_alu instid0(SALU_CYCLE_1)
	s_mul_hi_u32 s17, s12, s15
	s_mul_i32 s16, s12, s15
	s_mul_hi_u32 s18, s12, s14
	s_mul_i32 s5, s13, s14
	s_add_nc_u64 s[16:17], s[18:19], s[16:17]
	s_mul_hi_u32 s2, s13, s14
	s_mul_hi_u32 s11, s13, s15
	s_add_co_u32 s5, s16, s5
	s_add_co_ci_u32 s18, s17, s2
	s_mul_i32 s14, s13, s15
	s_add_co_ci_u32 s15, s11, 0
	s_delay_alu instid0(SALU_CYCLE_1) | instskip(NEXT) | instid1(SALU_CYCLE_1)
	s_add_nc_u64 s[14:15], s[18:19], s[14:15]
	s_add_co_u32 s2, s12, s14
	s_cselect_b32 s5, -1, 0
	v_mul_hi_u32 v16, v8, s2
	s_cmp_lg_u32 s5, 0
	s_add_co_ci_u32 s18, s13, s15
	s_mov_b64 s[12:13], 0xffffffff
	v_mul_u64_e32 v[12:13], s[18:19], v[8:9]
	s_and_b64 s[12:13], s[2:3], s[12:13]
	v_mul_u64_e32 v[14:15], s[18:19], v[10:11]
	v_mul_u64_e32 v[6:7], s[12:13], v[10:11]
	s_delay_alu instid0(VALU_DEP_3) | instskip(NEXT) | instid1(VALU_DEP_1)
	v_add_nc_u64_e32 v[12:13], v[16:17], v[12:13]
	v_add_co_u32 v3, vcc_lo, v12, v6
	s_delay_alu instid0(VALU_DEP_2) | instskip(SKIP_1) | instid1(VALU_DEP_1)
	v_add_co_ci_u32_e32 v4, vcc_lo, v13, v7, vcc_lo
	v_add_co_ci_u32_e32 v15, vcc_lo, 0, v15, vcc_lo
	v_add_nc_u64_e32 v[4:5], v[4:5], v[14:15]
	s_delay_alu instid0(VALU_DEP_1) | instskip(NEXT) | instid1(VALU_DEP_1)
	v_mul_u64_e32 v[6:7], s[8:9], v[4:5]
	v_sub_nc_u32_e32 v3, v10, v7
	s_delay_alu instid0(VALU_DEP_2) | instskip(NEXT) | instid1(VALU_DEP_1)
	v_sub_co_u32 v6, vcc_lo, v8, v6
	v_sub_co_ci_u32_e64 v10, null, v10, v7, vcc_lo
	s_delay_alu instid0(VALU_DEP_3) | instskip(NEXT) | instid1(VALU_DEP_3)
	v_subrev_co_ci_u32_e64 v3, null, s9, v3, vcc_lo
	v_sub_co_u32 v8, s2, v6, s8
	s_delay_alu instid0(VALU_DEP_1) | instskip(NEXT) | instid1(VALU_DEP_2)
	v_subrev_co_ci_u32_e64 v3, null, 0, v3, s2
	v_cmp_le_u32_e32 vcc_lo, s8, v8
	v_cndmask_b32_e64 v7, 0, -1, vcc_lo
	s_delay_alu instid0(VALU_DEP_3)
	v_cmp_le_u32_e32 vcc_lo, s9, v3
	v_cndmask_b32_e64 v8, 0, -1, vcc_lo
	v_cmp_le_u32_e32 vcc_lo, s8, v6
	v_cndmask_b32_e64 v11, 0, -1, vcc_lo
	;; [unrolled: 2-line block ×3, first 2 shown]
	v_cmp_eq_u32_e32 vcc_lo, s9, v3
	v_cndmask_b32_e32 v3, v8, v7, vcc_lo
	v_cmp_eq_u32_e32 vcc_lo, s9, v10
	v_add_nc_u64_e32 v[6:7], 2, v[4:5]
	v_add_nc_u64_e32 v[8:9], 1, v[4:5]
	v_cndmask_b32_e32 v10, v12, v11, vcc_lo
	v_cmp_ne_u32_e32 vcc_lo, 0, v3
	s_delay_alu instid0(VALU_DEP_2) | instskip(NEXT) | instid1(VALU_DEP_4)
	v_cmp_ne_u32_e64 s2, 0, v10
	v_dual_cndmask_b32 v6, v8, v6 :: v_dual_cndmask_b32 v3, v9, v7
	s_delay_alu instid0(VALU_DEP_1) | instskip(NEXT) | instid1(VALU_DEP_1)
	v_dual_cndmask_b32 v4, v4, v6, s2 :: v_dual_cndmask_b32 v5, v5, v3, s2
	v_dual_mov_b32 v3, v2 :: v_dual_bitop2_b32 v4, v4, v2 bitop3:0x14
	s_delay_alu instid0(VALU_DEP_2) | instskip(NEXT) | instid1(VALU_DEP_1)
	v_xor_b32_e32 v5, v5, v2
	v_sub_nc_u64_e32 v[2:3], v[4:5], v[2:3]
.LBB39_3:
	s_and_not1_saveexec_b32 s2, s10
	s_cbranch_execz .LBB39_5
; %bb.4:
	v_cvt_f32_u32_e32 v2, s6
	s_sub_co_i32 s4, 0, s6
	s_delay_alu instid0(VALU_DEP_1) | instskip(SKIP_1) | instid1(TRANS32_DEP_1)
	v_rcp_iflag_f32_e32 v2, v2
	v_nop
	v_mul_f32_e32 v2, 0x4f7ffffe, v2
	s_delay_alu instid0(VALU_DEP_1) | instskip(NEXT) | instid1(VALU_DEP_1)
	v_cvt_u32_f32_e32 v2, v2
	v_mul_lo_u32 v3, s4, v2
	s_delay_alu instid0(VALU_DEP_1) | instskip(NEXT) | instid1(VALU_DEP_1)
	v_mul_hi_u32 v3, v2, v3
	v_add_nc_u32_e32 v2, v2, v3
	s_delay_alu instid0(VALU_DEP_1) | instskip(NEXT) | instid1(VALU_DEP_1)
	v_mul_hi_u32 v2, v0, v2
	v_mul_lo_u32 v3, v2, s6
	s_delay_alu instid0(VALU_DEP_1) | instskip(NEXT) | instid1(VALU_DEP_1)
	v_dual_add_nc_u32 v4, 1, v2 :: v_dual_sub_nc_u32 v3, v0, v3
	v_subrev_nc_u32_e32 v5, s6, v3
	v_cmp_le_u32_e32 vcc_lo, s6, v3
	s_delay_alu instid0(VALU_DEP_2) | instskip(NEXT) | instid1(VALU_DEP_1)
	v_dual_cndmask_b32 v3, v3, v5 :: v_dual_cndmask_b32 v2, v2, v4
	v_cmp_le_u32_e32 vcc_lo, s6, v3
	s_delay_alu instid0(VALU_DEP_2) | instskip(NEXT) | instid1(VALU_DEP_1)
	v_dual_mov_b32 v3, 0 :: v_dual_add_nc_u32 v4, 1, v2
	v_cndmask_b32_e32 v2, v2, v4, vcc_lo
.LBB39_5:
	s_or_b32 exec_lo, exec_lo, s2
	s_delay_alu instid0(VALU_DEP_1)
	v_mul_u64_e32 v[4:5], s[6:7], v[2:3]
	s_clause 0x1
	s_load_b128 s[12:15], s[0:1], 0x90
	s_load_b256 s[4:11], s[0:1], 0x18
	s_wait_kmcnt 0x0
	s_bfe_u32 s5, ttmp6, 0x40014
	s_bfe_u32 s16, ttmp6, 0x40010
	s_lshr_b32 s2, ttmp7, 16
	s_and_b32 s20, ttmp7, 0xffff
	s_add_co_i32 s5, s5, 1
	s_add_co_i32 s16, s16, 1
	s_bfe_u32 s7, ttmp6, 0x40008
	s_bfe_u32 s17, ttmp6, 0x40004
	s_mul_i32 s5, s2, s5
	s_mul_i32 s16, s20, s16
	s_add_co_i32 s7, s7, s5
	s_add_co_i32 s5, s17, s16
	s_cmp_eq_u32 s3, 0
	s_load_b128 s[16:19], s[0:1], 0x38
	s_cselect_b32 s5, s20, s5
	s_cselect_b32 s7, s2, s7
	s_sub_co_i32 s3, 0, s12
	s_add_co_i32 s4, s12, s4
	s_max_i32 s3, s3, 0
	s_add_co_i32 s4, s4, -1
	s_add_co_i32 s6, s13, s6
	v_maxmin_i32 v3, s12, v2, s4
	s_max_i32 s4, s12, 0
	s_add_co_i32 s6, s6, -1
	s_sub_co_i32 s3, s3, s4
	s_sub_co_i32 s2, 0, s13
	s_add_co_i32 s12, s15, s7
	s_max_i32 s2, s2, 0
	v_sub_nc_u64_e32 v[0:1], v[0:1], v[4:5]
	v_add_nc_u32_e32 v4, s3, v3
	s_max_i32 s3, s13, 0
	s_add_co_i32 s14, s14, s5
	s_sub_co_i32 s2, s2, s3
	s_ashr_i32 s15, s14, 31
	s_delay_alu instid0(VALU_DEP_2) | instskip(SKIP_3) | instid1(SALU_CYCLE_1)
	v_maxmin_i32 v3, s13, v0, s6
	s_ashr_i32 s13, s12, 31
	s_mul_u64 s[6:7], s[10:11], s[14:15]
	s_mul_u64 s[4:5], s[8:9], s[12:13]
	s_lshl_b64 s[4:5], s[4:5], 1
	v_dual_add_nc_u32 v6, s2, v3 :: v_dual_ashrrev_i32 v5, 31, v4
	s_load_b64 s[2:3], s[0:1], 0x0
	v_ashrrev_i32_e32 v3, 31, v2
	s_delay_alu instid0(VALU_DEP_2) | instskip(SKIP_2) | instid1(VALU_DEP_2)
	v_ashrrev_i32_e32 v7, 31, v6
	s_wait_kmcnt 0x0
	v_mul_u64_e32 v[4:5], s[16:17], v[4:5]
	v_mul_u64_e32 v[6:7], s[18:19], v[6:7]
	s_add_nc_u64 s[2:3], s[2:3], s[4:5]
	s_lshl_b64 s[4:5], s[6:7], 1
	s_delay_alu instid0(SALU_CYCLE_1) | instskip(SKIP_1) | instid1(VALU_DEP_2)
	s_add_nc_u64 s[2:3], s[2:3], s[4:5]
	s_load_b256 s[4:11], s[0:1], 0x70
	v_lshl_add_u64 v[4:5], v[4:5], 1, s[2:3]
	s_wait_xcnt 0x0
	s_load_b64 s[0:1], s[0:1], 0x48
	s_delay_alu instid0(VALU_DEP_1)
	v_lshl_add_u64 v[4:5], v[6:7], 1, v[4:5]
	s_wait_kmcnt 0x0
	v_mul_u64_e32 v[2:3], s[8:9], v[2:3]
	v_mul_u64_e32 v[0:1], s[10:11], v[0:1]
	global_load_u16 v4, v[4:5], off
	s_mul_u64 s[2:3], s[4:5], s[12:13]
	s_mul_u64 s[4:5], s[6:7], s[14:15]
	s_lshl_b64 s[2:3], s[2:3], 1
	s_delay_alu instid0(SALU_CYCLE_1) | instskip(SKIP_1) | instid1(SALU_CYCLE_1)
	s_add_nc_u64 s[0:1], s[0:1], s[2:3]
	s_lshl_b64 s[2:3], s[4:5], 1
	s_add_nc_u64 s[0:1], s[0:1], s[2:3]
	s_delay_alu instid0(SALU_CYCLE_1) | instskip(NEXT) | instid1(VALU_DEP_1)
	v_lshl_add_u64 v[2:3], v[2:3], 1, s[0:1]
	v_lshl_add_u64 v[0:1], v[0:1], 1, v[2:3]
	s_wait_loadcnt 0x0
	global_store_b16 v[0:1], v4, off
.LBB39_6:
	s_endpgm
	.section	.rodata,"a",@progbits
	.p2align	6, 0x0
	.amdhsa_kernel _ZN2at6native12_GLOBAL__N_132replication_pad_forward_kernel2dIN3c108BFloat16EEEvN5torch10headeronly6detail27GenericPackedTensorAccessorINS7_14TensorAccessorINS3_8ArrayRefIlEEKT_Lm3ENS6_16DefaultPtrTraitsElEENS_6detail16IndexBoundsCheckILm4ElEESD_Lm4ESE_lEENS8_INS9_ISB_SC_Lm3ESE_lEESI_SC_Lm4ESE_lEEiiii
		.amdhsa_group_segment_fixed_size 0
		.amdhsa_private_segment_fixed_size 0
		.amdhsa_kernarg_size 416
		.amdhsa_user_sgpr_count 2
		.amdhsa_user_sgpr_dispatch_ptr 0
		.amdhsa_user_sgpr_queue_ptr 0
		.amdhsa_user_sgpr_kernarg_segment_ptr 1
		.amdhsa_user_sgpr_dispatch_id 0
		.amdhsa_user_sgpr_kernarg_preload_length 0
		.amdhsa_user_sgpr_kernarg_preload_offset 0
		.amdhsa_user_sgpr_private_segment_size 0
		.amdhsa_wavefront_size32 1
		.amdhsa_uses_dynamic_stack 0
		.amdhsa_enable_private_segment 0
		.amdhsa_system_sgpr_workgroup_id_x 1
		.amdhsa_system_sgpr_workgroup_id_y 1
		.amdhsa_system_sgpr_workgroup_id_z 1
		.amdhsa_system_sgpr_workgroup_info 0
		.amdhsa_system_vgpr_workitem_id 0
		.amdhsa_next_free_vgpr 18
		.amdhsa_next_free_sgpr 22
		.amdhsa_named_barrier_count 0
		.amdhsa_reserve_vcc 1
		.amdhsa_float_round_mode_32 0
		.amdhsa_float_round_mode_16_64 0
		.amdhsa_float_denorm_mode_32 3
		.amdhsa_float_denorm_mode_16_64 3
		.amdhsa_fp16_overflow 0
		.amdhsa_memory_ordered 1
		.amdhsa_forward_progress 1
		.amdhsa_inst_pref_size 10
		.amdhsa_round_robin_scheduling 0
		.amdhsa_exception_fp_ieee_invalid_op 0
		.amdhsa_exception_fp_denorm_src 0
		.amdhsa_exception_fp_ieee_div_zero 0
		.amdhsa_exception_fp_ieee_overflow 0
		.amdhsa_exception_fp_ieee_underflow 0
		.amdhsa_exception_fp_ieee_inexact 0
		.amdhsa_exception_int_div_zero 0
	.end_amdhsa_kernel
	.section	.text._ZN2at6native12_GLOBAL__N_132replication_pad_forward_kernel2dIN3c108BFloat16EEEvN5torch10headeronly6detail27GenericPackedTensorAccessorINS7_14TensorAccessorINS3_8ArrayRefIlEEKT_Lm3ENS6_16DefaultPtrTraitsElEENS_6detail16IndexBoundsCheckILm4ElEESD_Lm4ESE_lEENS8_INS9_ISB_SC_Lm3ESE_lEESI_SC_Lm4ESE_lEEiiii,"axG",@progbits,_ZN2at6native12_GLOBAL__N_132replication_pad_forward_kernel2dIN3c108BFloat16EEEvN5torch10headeronly6detail27GenericPackedTensorAccessorINS7_14TensorAccessorINS3_8ArrayRefIlEEKT_Lm3ENS6_16DefaultPtrTraitsElEENS_6detail16IndexBoundsCheckILm4ElEESD_Lm4ESE_lEENS8_INS9_ISB_SC_Lm3ESE_lEESI_SC_Lm4ESE_lEEiiii,comdat
.Lfunc_end39:
	.size	_ZN2at6native12_GLOBAL__N_132replication_pad_forward_kernel2dIN3c108BFloat16EEEvN5torch10headeronly6detail27GenericPackedTensorAccessorINS7_14TensorAccessorINS3_8ArrayRefIlEEKT_Lm3ENS6_16DefaultPtrTraitsElEENS_6detail16IndexBoundsCheckILm4ElEESD_Lm4ESE_lEENS8_INS9_ISB_SC_Lm3ESE_lEESI_SC_Lm4ESE_lEEiiii, .Lfunc_end39-_ZN2at6native12_GLOBAL__N_132replication_pad_forward_kernel2dIN3c108BFloat16EEEvN5torch10headeronly6detail27GenericPackedTensorAccessorINS7_14TensorAccessorINS3_8ArrayRefIlEEKT_Lm3ENS6_16DefaultPtrTraitsElEENS_6detail16IndexBoundsCheckILm4ElEESD_Lm4ESE_lEENS8_INS9_ISB_SC_Lm3ESE_lEESI_SC_Lm4ESE_lEEiiii
                                        ; -- End function
	.set _ZN2at6native12_GLOBAL__N_132replication_pad_forward_kernel2dIN3c108BFloat16EEEvN5torch10headeronly6detail27GenericPackedTensorAccessorINS7_14TensorAccessorINS3_8ArrayRefIlEEKT_Lm3ENS6_16DefaultPtrTraitsElEENS_6detail16IndexBoundsCheckILm4ElEESD_Lm4ESE_lEENS8_INS9_ISB_SC_Lm3ESE_lEESI_SC_Lm4ESE_lEEiiii.num_vgpr, 18
	.set _ZN2at6native12_GLOBAL__N_132replication_pad_forward_kernel2dIN3c108BFloat16EEEvN5torch10headeronly6detail27GenericPackedTensorAccessorINS7_14TensorAccessorINS3_8ArrayRefIlEEKT_Lm3ENS6_16DefaultPtrTraitsElEENS_6detail16IndexBoundsCheckILm4ElEESD_Lm4ESE_lEENS8_INS9_ISB_SC_Lm3ESE_lEESI_SC_Lm4ESE_lEEiiii.num_agpr, 0
	.set _ZN2at6native12_GLOBAL__N_132replication_pad_forward_kernel2dIN3c108BFloat16EEEvN5torch10headeronly6detail27GenericPackedTensorAccessorINS7_14TensorAccessorINS3_8ArrayRefIlEEKT_Lm3ENS6_16DefaultPtrTraitsElEENS_6detail16IndexBoundsCheckILm4ElEESD_Lm4ESE_lEENS8_INS9_ISB_SC_Lm3ESE_lEESI_SC_Lm4ESE_lEEiiii.numbered_sgpr, 22
	.set _ZN2at6native12_GLOBAL__N_132replication_pad_forward_kernel2dIN3c108BFloat16EEEvN5torch10headeronly6detail27GenericPackedTensorAccessorINS7_14TensorAccessorINS3_8ArrayRefIlEEKT_Lm3ENS6_16DefaultPtrTraitsElEENS_6detail16IndexBoundsCheckILm4ElEESD_Lm4ESE_lEENS8_INS9_ISB_SC_Lm3ESE_lEESI_SC_Lm4ESE_lEEiiii.num_named_barrier, 0
	.set _ZN2at6native12_GLOBAL__N_132replication_pad_forward_kernel2dIN3c108BFloat16EEEvN5torch10headeronly6detail27GenericPackedTensorAccessorINS7_14TensorAccessorINS3_8ArrayRefIlEEKT_Lm3ENS6_16DefaultPtrTraitsElEENS_6detail16IndexBoundsCheckILm4ElEESD_Lm4ESE_lEENS8_INS9_ISB_SC_Lm3ESE_lEESI_SC_Lm4ESE_lEEiiii.private_seg_size, 0
	.set _ZN2at6native12_GLOBAL__N_132replication_pad_forward_kernel2dIN3c108BFloat16EEEvN5torch10headeronly6detail27GenericPackedTensorAccessorINS7_14TensorAccessorINS3_8ArrayRefIlEEKT_Lm3ENS6_16DefaultPtrTraitsElEENS_6detail16IndexBoundsCheckILm4ElEESD_Lm4ESE_lEENS8_INS9_ISB_SC_Lm3ESE_lEESI_SC_Lm4ESE_lEEiiii.uses_vcc, 1
	.set _ZN2at6native12_GLOBAL__N_132replication_pad_forward_kernel2dIN3c108BFloat16EEEvN5torch10headeronly6detail27GenericPackedTensorAccessorINS7_14TensorAccessorINS3_8ArrayRefIlEEKT_Lm3ENS6_16DefaultPtrTraitsElEENS_6detail16IndexBoundsCheckILm4ElEESD_Lm4ESE_lEENS8_INS9_ISB_SC_Lm3ESE_lEESI_SC_Lm4ESE_lEEiiii.uses_flat_scratch, 0
	.set _ZN2at6native12_GLOBAL__N_132replication_pad_forward_kernel2dIN3c108BFloat16EEEvN5torch10headeronly6detail27GenericPackedTensorAccessorINS7_14TensorAccessorINS3_8ArrayRefIlEEKT_Lm3ENS6_16DefaultPtrTraitsElEENS_6detail16IndexBoundsCheckILm4ElEESD_Lm4ESE_lEENS8_INS9_ISB_SC_Lm3ESE_lEESI_SC_Lm4ESE_lEEiiii.has_dyn_sized_stack, 0
	.set _ZN2at6native12_GLOBAL__N_132replication_pad_forward_kernel2dIN3c108BFloat16EEEvN5torch10headeronly6detail27GenericPackedTensorAccessorINS7_14TensorAccessorINS3_8ArrayRefIlEEKT_Lm3ENS6_16DefaultPtrTraitsElEENS_6detail16IndexBoundsCheckILm4ElEESD_Lm4ESE_lEENS8_INS9_ISB_SC_Lm3ESE_lEESI_SC_Lm4ESE_lEEiiii.has_recursion, 0
	.set _ZN2at6native12_GLOBAL__N_132replication_pad_forward_kernel2dIN3c108BFloat16EEEvN5torch10headeronly6detail27GenericPackedTensorAccessorINS7_14TensorAccessorINS3_8ArrayRefIlEEKT_Lm3ENS6_16DefaultPtrTraitsElEENS_6detail16IndexBoundsCheckILm4ElEESD_Lm4ESE_lEENS8_INS9_ISB_SC_Lm3ESE_lEESI_SC_Lm4ESE_lEEiiii.has_indirect_call, 0
	.section	.AMDGPU.csdata,"",@progbits
; Kernel info:
; codeLenInByte = 1268
; TotalNumSgprs: 24
; NumVgprs: 18
; ScratchSize: 0
; MemoryBound: 0
; FloatMode: 240
; IeeeMode: 1
; LDSByteSize: 0 bytes/workgroup (compile time only)
; SGPRBlocks: 0
; VGPRBlocks: 1
; NumSGPRsForWavesPerEU: 24
; NumVGPRsForWavesPerEU: 18
; NamedBarCnt: 0
; Occupancy: 16
; WaveLimiterHint : 1
; COMPUTE_PGM_RSRC2:SCRATCH_EN: 0
; COMPUTE_PGM_RSRC2:USER_SGPR: 2
; COMPUTE_PGM_RSRC2:TRAP_HANDLER: 0
; COMPUTE_PGM_RSRC2:TGID_X_EN: 1
; COMPUTE_PGM_RSRC2:TGID_Y_EN: 1
; COMPUTE_PGM_RSRC2:TGID_Z_EN: 1
; COMPUTE_PGM_RSRC2:TIDIG_COMP_CNT: 0
	.section	.text._ZN2at6native12_GLOBAL__N_132replication_pad_forward_kernel3dIhEEvN5torch10headeronly6detail27GenericPackedTensorAccessorINS5_14TensorAccessorIN3c108ArrayRefIlEEKT_Lm4ENS4_16DefaultPtrTraitsElEENS_6detail16IndexBoundsCheckILm5ElEESC_Lm5ESD_lEENS6_INS7_ISA_SB_Lm4ESD_lEESH_SB_Lm5ESD_lEEiiiii,"axG",@progbits,_ZN2at6native12_GLOBAL__N_132replication_pad_forward_kernel3dIhEEvN5torch10headeronly6detail27GenericPackedTensorAccessorINS5_14TensorAccessorIN3c108ArrayRefIlEEKT_Lm4ENS4_16DefaultPtrTraitsElEENS_6detail16IndexBoundsCheckILm5ElEESC_Lm5ESD_lEENS6_INS7_ISA_SB_Lm4ESD_lEESH_SB_Lm5ESD_lEEiiiii,comdat
	.globl	_ZN2at6native12_GLOBAL__N_132replication_pad_forward_kernel3dIhEEvN5torch10headeronly6detail27GenericPackedTensorAccessorINS5_14TensorAccessorIN3c108ArrayRefIlEEKT_Lm4ENS4_16DefaultPtrTraitsElEENS_6detail16IndexBoundsCheckILm5ElEESC_Lm5ESD_lEENS6_INS7_ISA_SB_Lm4ESD_lEESH_SB_Lm5ESD_lEEiiiii ; -- Begin function _ZN2at6native12_GLOBAL__N_132replication_pad_forward_kernel3dIhEEvN5torch10headeronly6detail27GenericPackedTensorAccessorINS5_14TensorAccessorIN3c108ArrayRefIlEEKT_Lm4ENS4_16DefaultPtrTraitsElEENS_6detail16IndexBoundsCheckILm5ElEESC_Lm5ESD_lEENS6_INS7_ISA_SB_Lm4ESD_lEESH_SB_Lm5ESD_lEEiiiii
	.p2align	8
	.type	_ZN2at6native12_GLOBAL__N_132replication_pad_forward_kernel3dIhEEvN5torch10headeronly6detail27GenericPackedTensorAccessorINS5_14TensorAccessorIN3c108ArrayRefIlEEKT_Lm4ENS4_16DefaultPtrTraitsElEENS_6detail16IndexBoundsCheckILm5ElEESC_Lm5ESD_lEENS6_INS7_ISA_SB_Lm4ESD_lEESH_SB_Lm5ESD_lEEiiiii,@function
_ZN2at6native12_GLOBAL__N_132replication_pad_forward_kernel3dIhEEvN5torch10headeronly6detail27GenericPackedTensorAccessorINS5_14TensorAccessorIN3c108ArrayRefIlEEKT_Lm4ENS4_16DefaultPtrTraitsElEENS_6detail16IndexBoundsCheckILm5ElEESC_Lm5ESD_lEENS6_INS7_ISA_SB_Lm4ESD_lEESH_SB_Lm5ESD_lEEiiiii: ; @_ZN2at6native12_GLOBAL__N_132replication_pad_forward_kernel3dIhEEvN5torch10headeronly6detail27GenericPackedTensorAccessorINS5_14TensorAccessorIN3c108ArrayRefIlEEKT_Lm4ENS4_16DefaultPtrTraitsElEENS_6detail16IndexBoundsCheckILm5ElEESC_Lm5ESD_lEENS6_INS7_ISA_SB_Lm4ESD_lEESH_SB_Lm5ESD_lEEiiiii
; %bb.0:
	s_load_b32 s2, s[0:1], 0xd4
	s_bfe_u32 s4, ttmp6, 0x4000c
	s_and_b32 s8, ttmp6, 15
	s_add_co_i32 s9, s4, 1
	s_clause 0x1
	s_load_b128 s[4:7], s[0:1], 0x70
	s_load_b64 s[24:25], s[0:1], 0x80
	s_mul_i32 s9, ttmp9, s9
	s_getreg_b32 s3, hwreg(HW_REG_IB_STS2, 6, 4)
	s_add_co_i32 s8, s8, s9
	s_wait_kmcnt 0x0
	s_and_b32 s2, s2, 0xffff
	s_cmp_eq_u32 s3, 0
	s_cselect_b32 s8, ttmp9, s8
	s_delay_alu instid0(SALU_CYCLE_1) | instskip(SKIP_3) | instid1(VALU_DEP_1)
	v_mad_u32 v0, s8, s2, v0
	s_mul_u64 s[8:9], s[24:25], s[6:7]
	s_mov_b32 s2, exec_lo
	s_mul_u64 s[4:5], s[8:9], s[4:5]
	v_ashrrev_i32_e32 v1, 31, v0
	s_delay_alu instid0(VALU_DEP_1)
	v_cmpx_gt_i64_e64 s[4:5], v[0:1]
	s_cbranch_execz .LBB40_14
; %bb.1:
	v_dual_mov_b32 v6, 0 :: v_dual_bitop2_b32 v7, s25, v1 bitop3:0x54
	v_ashrrev_i32_e32 v2, 31, v1
                                        ; implicit-def: $vgpr4_vgpr5
	s_mov_b32 s2, exec_lo
	s_delay_alu instid0(VALU_DEP_2)
	v_cmpx_ne_u64_e32 0, v[6:7]
	s_xor_b32 s12, exec_lo, s2
	s_cbranch_execz .LBB40_3
; %bb.2:
	s_ashr_i32 s4, s25, 31
	s_mov_b32 s21, 0
	s_mov_b32 s5, s4
	v_dual_mov_b32 v3, v2 :: v_dual_mov_b32 v9, v6
	s_add_nc_u64 s[10:11], s[24:25], s[4:5]
	v_mov_b32_e32 v7, v6
	s_xor_b64 s[10:11], s[10:11], s[4:5]
	s_delay_alu instid0(VALU_DEP_2) | instskip(SKIP_4) | instid1(SALU_CYCLE_1)
	v_add_nc_u64_e32 v[4:5], v[0:1], v[2:3]
	s_cvt_f32_u32 s2, s10
	s_cvt_f32_u32 s5, s11
	s_sub_nc_u64 s[16:17], 0, s[10:11]
	v_dual_mov_b32 v11, v6 :: v_dual_mov_b32 v17, v6
	s_fmamk_f32 s2, s5, 0x4f800000, s2
	s_delay_alu instid0(VALU_DEP_2) | instskip(SKIP_1) | instid1(SALU_CYCLE_1)
	v_xor_b32_e32 v8, v4, v2
	v_xor_b32_e32 v10, v5, v2
	v_s_rcp_f32 s2, s2
	s_delay_alu instid0(TRANS32_DEP_1) | instskip(NEXT) | instid1(SALU_CYCLE_3)
	s_mul_f32 s2, s2, 0x5f7ffffc
	s_mul_f32 s5, s2, 0x2f800000
	s_delay_alu instid0(SALU_CYCLE_3) | instskip(NEXT) | instid1(SALU_CYCLE_3)
	s_trunc_f32 s5, s5
	s_fmamk_f32 s2, s5, 0xcf800000, s2
	s_cvt_u32_f32 s15, s5
	s_delay_alu instid0(SALU_CYCLE_2) | instskip(NEXT) | instid1(SALU_CYCLE_3)
	s_cvt_u32_f32 s14, s2
	s_mul_u64 s[18:19], s[16:17], s[14:15]
	s_delay_alu instid0(SALU_CYCLE_1)
	s_mul_hi_u32 s23, s14, s19
	s_mul_i32 s22, s14, s19
	s_mul_hi_u32 s20, s14, s18
	s_mul_i32 s5, s15, s18
	s_add_nc_u64 s[22:23], s[20:21], s[22:23]
	s_mul_hi_u32 s2, s15, s18
	s_mul_hi_u32 s13, s15, s19
	s_add_co_u32 s5, s22, s5
	s_add_co_ci_u32 s20, s23, s2
	s_mul_i32 s18, s15, s19
	s_add_co_ci_u32 s19, s13, 0
	s_delay_alu instid0(SALU_CYCLE_1) | instskip(NEXT) | instid1(SALU_CYCLE_1)
	s_add_nc_u64 s[18:19], s[20:21], s[18:19]
	s_add_co_u32 s14, s14, s18
	s_cselect_b32 s2, -1, 0
	s_delay_alu instid0(SALU_CYCLE_1) | instskip(SKIP_1) | instid1(SALU_CYCLE_1)
	s_cmp_lg_u32 s2, 0
	s_add_co_ci_u32 s15, s15, s19
	s_mul_u64 s[16:17], s[16:17], s[14:15]
	s_delay_alu instid0(SALU_CYCLE_1)
	s_mul_hi_u32 s19, s14, s17
	s_mul_i32 s18, s14, s17
	s_mul_hi_u32 s20, s14, s16
	s_mul_i32 s5, s15, s16
	s_add_nc_u64 s[18:19], s[20:21], s[18:19]
	s_mul_hi_u32 s2, s15, s16
	s_mul_hi_u32 s13, s15, s17
	s_add_co_u32 s5, s18, s5
	s_add_co_ci_u32 s20, s19, s2
	s_mul_i32 s16, s15, s17
	s_add_co_ci_u32 s17, s13, 0
	s_delay_alu instid0(SALU_CYCLE_1) | instskip(NEXT) | instid1(SALU_CYCLE_1)
	s_add_nc_u64 s[16:17], s[20:21], s[16:17]
	s_add_co_u32 s2, s14, s16
	s_cselect_b32 s5, -1, 0
	v_nop
	v_mul_hi_u32 v16, v8, s2
	s_cmp_lg_u32 s5, 0
	s_add_co_ci_u32 s20, s15, s17
	s_mov_b64 s[14:15], 0xffffffff
	v_mul_u64_e32 v[12:13], s[20:21], v[8:9]
	s_and_b64 s[14:15], s[2:3], s[14:15]
	v_mul_u64_e32 v[14:15], s[20:21], v[10:11]
	v_mul_u64_e32 v[4:5], s[14:15], v[10:11]
	s_delay_alu instid0(VALU_DEP_3) | instskip(NEXT) | instid1(VALU_DEP_1)
	v_add_nc_u64_e32 v[12:13], v[16:17], v[12:13]
	v_add_co_u32 v3, vcc_lo, v12, v4
	s_delay_alu instid0(VALU_DEP_2) | instskip(SKIP_1) | instid1(VALU_DEP_1)
	v_add_co_ci_u32_e32 v6, vcc_lo, v13, v5, vcc_lo
	v_add_co_ci_u32_e32 v15, vcc_lo, 0, v15, vcc_lo
	v_add_nc_u64_e32 v[4:5], v[6:7], v[14:15]
	s_delay_alu instid0(VALU_DEP_1) | instskip(NEXT) | instid1(VALU_DEP_1)
	v_mul_u64_e32 v[6:7], s[10:11], v[4:5]
	v_sub_nc_u32_e32 v3, v10, v7
	s_delay_alu instid0(VALU_DEP_2) | instskip(NEXT) | instid1(VALU_DEP_1)
	v_sub_co_u32 v6, vcc_lo, v8, v6
	v_sub_co_ci_u32_e64 v10, null, v10, v7, vcc_lo
	s_delay_alu instid0(VALU_DEP_3) | instskip(NEXT) | instid1(VALU_DEP_3)
	v_subrev_co_ci_u32_e64 v3, null, s11, v3, vcc_lo
	v_sub_co_u32 v8, s2, v6, s10
	s_delay_alu instid0(VALU_DEP_1) | instskip(NEXT) | instid1(VALU_DEP_2)
	v_subrev_co_ci_u32_e64 v3, null, 0, v3, s2
	v_cmp_le_u32_e32 vcc_lo, s10, v8
	v_cndmask_b32_e64 v7, 0, -1, vcc_lo
	s_delay_alu instid0(VALU_DEP_3)
	v_cmp_le_u32_e32 vcc_lo, s11, v3
	v_cndmask_b32_e64 v8, 0, -1, vcc_lo
	v_cmp_le_u32_e32 vcc_lo, s10, v6
	v_cndmask_b32_e64 v11, 0, -1, vcc_lo
	;; [unrolled: 2-line block ×3, first 2 shown]
	v_cmp_eq_u32_e32 vcc_lo, s11, v3
	v_cndmask_b32_e32 v3, v8, v7, vcc_lo
	v_cmp_eq_u32_e32 vcc_lo, s11, v10
	v_add_nc_u64_e32 v[6:7], 2, v[4:5]
	v_add_nc_u64_e32 v[8:9], 1, v[4:5]
	v_cndmask_b32_e32 v10, v12, v11, vcc_lo
	v_cmp_ne_u32_e32 vcc_lo, 0, v3
	s_delay_alu instid0(VALU_DEP_2) | instskip(NEXT) | instid1(VALU_DEP_4)
	v_cmp_ne_u32_e64 s2, 0, v10
	v_dual_cndmask_b32 v3, v9, v7, vcc_lo :: v_dual_cndmask_b32 v7, v8, v6, vcc_lo
	s_delay_alu instid0(VALU_DEP_1) | instskip(NEXT) | instid1(VALU_DEP_1)
	v_dual_cndmask_b32 v4, v4, v7, s2 :: v_dual_bitop2_b32 v6, s4, v2 bitop3:0x14
	v_dual_cndmask_b32 v3, v5, v3, s2 :: v_dual_mov_b32 v7, v6
	s_delay_alu instid0(VALU_DEP_2) | instskip(NEXT) | instid1(VALU_DEP_2)
	v_xor_b32_e32 v4, v4, v6
	v_xor_b32_e32 v5, v3, v6
	s_delay_alu instid0(VALU_DEP_1)
	v_sub_nc_u64_e32 v[4:5], v[4:5], v[6:7]
.LBB40_3:
	s_and_not1_saveexec_b32 s2, s12
	s_cbranch_execz .LBB40_5
; %bb.4:
	v_cvt_f32_u32_e32 v3, s24
	s_sub_co_i32 s4, 0, s24
	s_delay_alu instid0(VALU_DEP_1) | instskip(SKIP_1) | instid1(TRANS32_DEP_1)
	v_rcp_iflag_f32_e32 v3, v3
	v_nop
	v_mul_f32_e32 v3, 0x4f7ffffe, v3
	s_delay_alu instid0(VALU_DEP_1) | instskip(NEXT) | instid1(VALU_DEP_1)
	v_cvt_u32_f32_e32 v3, v3
	v_mul_lo_u32 v4, s4, v3
	s_delay_alu instid0(VALU_DEP_1) | instskip(NEXT) | instid1(VALU_DEP_1)
	v_mul_hi_u32 v4, v3, v4
	v_add_nc_u32_e32 v3, v3, v4
	s_delay_alu instid0(VALU_DEP_1) | instskip(NEXT) | instid1(VALU_DEP_1)
	v_mul_hi_u32 v3, v0, v3
	v_mul_lo_u32 v4, v3, s24
	s_delay_alu instid0(VALU_DEP_1) | instskip(NEXT) | instid1(VALU_DEP_1)
	v_dual_add_nc_u32 v5, 1, v3 :: v_dual_sub_nc_u32 v4, v0, v4
	v_subrev_nc_u32_e32 v6, s24, v4
	v_cmp_le_u32_e32 vcc_lo, s24, v4
	s_delay_alu instid0(VALU_DEP_2) | instskip(NEXT) | instid1(VALU_DEP_1)
	v_dual_cndmask_b32 v4, v4, v6 :: v_dual_cndmask_b32 v3, v3, v5
	v_cmp_le_u32_e32 vcc_lo, s24, v4
	s_delay_alu instid0(VALU_DEP_2) | instskip(NEXT) | instid1(VALU_DEP_1)
	v_add_nc_u32_e32 v5, 1, v3
	v_dual_cndmask_b32 v4, v3, v5 :: v_dual_mov_b32 v5, 0
.LBB40_5:
	s_or_b32 exec_lo, exec_lo, s2
	s_delay_alu instid0(VALU_DEP_1) | instskip(SKIP_1) | instid1(VALU_DEP_1)
	v_dual_mov_b32 v8, 0 :: v_dual_bitop2_b32 v9, s7, v5 bitop3:0x54
                                        ; implicit-def: $vgpr6_vgpr7
	s_mov_b32 s2, exec_lo
	v_cmpx_ne_u64_e32 0, v[8:9]
	s_xor_b32 s10, exec_lo, s2
	s_cbranch_execz .LBB40_7
; %bb.6:
	s_ashr_i32 s4, s7, 31
	s_mov_b32 s19, 0
	s_mov_b32 s5, s4
	v_dual_mov_b32 v13, v8 :: v_dual_ashrrev_i32 v6, 31, v5
	s_add_nc_u64 s[12:13], s[6:7], s[4:5]
	v_mov_b32_e32 v15, v8
	s_xor_b64 s[4:5], s[12:13], s[4:5]
	s_delay_alu instid0(VALU_DEP_2)
	v_mov_b32_e32 v7, v6
	s_cvt_f32_u32 s2, s4
	s_cvt_f32_u32 s7, s5
	s_sub_nc_u64 s[14:15], 0, s[4:5]
	v_mov_b32_e32 v21, v8
	v_add_nc_u64_e32 v[10:11], v[4:5], v[6:7]
	s_fmamk_f32 s2, s7, 0x4f800000, s2
	v_mov_b32_e32 v9, v8
	s_delay_alu instid0(SALU_CYCLE_2) | instskip(NEXT) | instid1(VALU_DEP_2)
	v_s_rcp_f32 s2, s2
	v_xor_b32_e32 v12, v10, v6
	s_delay_alu instid0(VALU_DEP_3) | instskip(NEXT) | instid1(TRANS32_DEP_1)
	v_xor_b32_e32 v14, v11, v6
	s_mul_f32 s2, s2, 0x5f7ffffc
	s_delay_alu instid0(SALU_CYCLE_3) | instskip(NEXT) | instid1(SALU_CYCLE_3)
	s_mul_f32 s7, s2, 0x2f800000
	s_trunc_f32 s7, s7
	s_delay_alu instid0(SALU_CYCLE_3) | instskip(SKIP_1) | instid1(SALU_CYCLE_2)
	s_fmamk_f32 s2, s7, 0xcf800000, s2
	s_cvt_u32_f32 s13, s7
	s_cvt_u32_f32 s12, s2
	s_delay_alu instid0(SALU_CYCLE_3) | instskip(NEXT) | instid1(SALU_CYCLE_1)
	s_mul_u64 s[16:17], s[14:15], s[12:13]
	s_mul_hi_u32 s21, s12, s17
	s_mul_i32 s20, s12, s17
	s_mul_hi_u32 s18, s12, s16
	s_mul_i32 s7, s13, s16
	s_add_nc_u64 s[20:21], s[18:19], s[20:21]
	s_mul_hi_u32 s2, s13, s16
	s_mul_hi_u32 s11, s13, s17
	s_add_co_u32 s7, s20, s7
	s_add_co_ci_u32 s18, s21, s2
	s_mul_i32 s16, s13, s17
	s_add_co_ci_u32 s17, s11, 0
	s_delay_alu instid0(SALU_CYCLE_1) | instskip(NEXT) | instid1(SALU_CYCLE_1)
	s_add_nc_u64 s[16:17], s[18:19], s[16:17]
	s_add_co_u32 s12, s12, s16
	s_cselect_b32 s2, -1, 0
	s_delay_alu instid0(SALU_CYCLE_1) | instskip(SKIP_1) | instid1(SALU_CYCLE_1)
	s_cmp_lg_u32 s2, 0
	s_add_co_ci_u32 s13, s13, s17
	s_mul_u64 s[14:15], s[14:15], s[12:13]
	s_delay_alu instid0(SALU_CYCLE_1)
	s_mul_hi_u32 s17, s12, s15
	s_mul_i32 s16, s12, s15
	s_mul_hi_u32 s18, s12, s14
	s_mul_i32 s7, s13, s14
	s_add_nc_u64 s[16:17], s[18:19], s[16:17]
	s_mul_hi_u32 s2, s13, s14
	s_mul_hi_u32 s11, s13, s15
	s_add_co_u32 s7, s16, s7
	s_add_co_ci_u32 s18, s17, s2
	s_mul_i32 s14, s13, s15
	s_add_co_ci_u32 s15, s11, 0
	s_delay_alu instid0(SALU_CYCLE_1) | instskip(NEXT) | instid1(SALU_CYCLE_1)
	s_add_nc_u64 s[14:15], s[18:19], s[14:15]
	s_add_co_u32 s2, s12, s14
	s_cselect_b32 s7, -1, 0
	v_mul_hi_u32 v20, v12, s2
	s_cmp_lg_u32 s7, 0
	s_add_co_ci_u32 s18, s13, s15
	s_mov_b64 s[12:13], 0xffffffff
	v_mul_u64_e32 v[16:17], s[18:19], v[12:13]
	s_and_b64 s[12:13], s[2:3], s[12:13]
	v_mul_u64_e32 v[18:19], s[18:19], v[14:15]
	v_mul_u64_e32 v[10:11], s[12:13], v[14:15]
	s_delay_alu instid0(VALU_DEP_3) | instskip(NEXT) | instid1(VALU_DEP_1)
	v_add_nc_u64_e32 v[16:17], v[20:21], v[16:17]
	v_add_co_u32 v3, vcc_lo, v16, v10
	s_delay_alu instid0(VALU_DEP_2) | instskip(SKIP_1) | instid1(VALU_DEP_1)
	v_add_co_ci_u32_e32 v8, vcc_lo, v17, v11, vcc_lo
	v_add_co_ci_u32_e32 v19, vcc_lo, 0, v19, vcc_lo
	v_add_nc_u64_e32 v[8:9], v[8:9], v[18:19]
	s_delay_alu instid0(VALU_DEP_1) | instskip(NEXT) | instid1(VALU_DEP_1)
	v_mul_u64_e32 v[8:9], s[4:5], v[8:9]
	v_sub_co_u32 v8, vcc_lo, v12, v8
	s_delay_alu instid0(VALU_DEP_1) | instskip(NEXT) | instid1(VALU_DEP_1)
	v_cmp_le_u32_e64 s2, s4, v8
	v_cndmask_b32_e64 v12, 0, -1, s2
	s_delay_alu instid0(VALU_DEP_4) | instskip(SKIP_1) | instid1(VALU_DEP_2)
	v_sub_nc_u32_e32 v3, v14, v9
	v_sub_co_ci_u32_e64 v9, null, v14, v9, vcc_lo
	v_subrev_co_ci_u32_e64 v3, null, s5, v3, vcc_lo
	v_sub_co_u32 v10, vcc_lo, v8, s4
	s_delay_alu instid0(VALU_DEP_1) | instskip(NEXT) | instid1(VALU_DEP_2)
	v_subrev_co_ci_u32_e64 v11, null, 0, v3, vcc_lo
	v_cmp_le_u32_e64 s2, s4, v10
	v_subrev_co_ci_u32_e64 v3, null, s5, v3, vcc_lo
	v_cmp_le_u32_e32 vcc_lo, s5, v9
	s_delay_alu instid0(VALU_DEP_3) | instskip(SKIP_3) | instid1(VALU_DEP_3)
	v_cndmask_b32_e64 v13, 0, -1, s2
	v_cmp_le_u32_e64 s2, s5, v11
	v_cndmask_b32_e64 v15, 0, -1, vcc_lo
	v_cmp_eq_u32_e32 vcc_lo, s5, v11
	v_cndmask_b32_e64 v14, 0, -1, s2
	v_cmp_eq_u32_e64 s2, s5, v9
	s_delay_alu instid0(VALU_DEP_2) | instskip(SKIP_1) | instid1(VALU_DEP_1)
	v_cndmask_b32_e32 v13, v14, v13, vcc_lo
	v_sub_co_u32 v14, vcc_lo, v10, s4
	v_subrev_co_ci_u32_e64 v3, null, 0, v3, vcc_lo
	s_delay_alu instid0(VALU_DEP_3) | instskip(SKIP_1) | instid1(VALU_DEP_3)
	v_cmp_ne_u32_e32 vcc_lo, 0, v13
	v_cndmask_b32_e64 v12, v15, v12, s2
	v_dual_cndmask_b32 v3, v11, v3 :: v_dual_cndmask_b32 v10, v10, v14
	s_delay_alu instid0(VALU_DEP_2) | instskip(NEXT) | instid1(VALU_DEP_2)
	v_cmp_ne_u32_e32 vcc_lo, 0, v12
	v_dual_cndmask_b32 v3, v9, v3 :: v_dual_cndmask_b32 v8, v8, v10
	s_delay_alu instid0(VALU_DEP_1) | instskip(NEXT) | instid1(VALU_DEP_2)
	v_xor_b32_e32 v9, v3, v6
	v_xor_b32_e32 v8, v8, v6
	s_delay_alu instid0(VALU_DEP_1)
	v_sub_nc_u64_e32 v[6:7], v[8:9], v[6:7]
.LBB40_7:
	s_and_not1_saveexec_b32 s2, s10
	s_cbranch_execz .LBB40_9
; %bb.8:
	v_cvt_f32_u32_e32 v3, s6
	s_sub_co_i32 s4, 0, s6
	s_delay_alu instid0(VALU_DEP_1) | instskip(SKIP_1) | instid1(TRANS32_DEP_1)
	v_rcp_iflag_f32_e32 v3, v3
	v_nop
	v_mul_f32_e32 v3, 0x4f7ffffe, v3
	s_delay_alu instid0(VALU_DEP_1) | instskip(NEXT) | instid1(VALU_DEP_1)
	v_cvt_u32_f32_e32 v3, v3
	v_mul_lo_u32 v6, s4, v3
	s_delay_alu instid0(VALU_DEP_1) | instskip(NEXT) | instid1(VALU_DEP_1)
	v_mul_hi_u32 v6, v3, v6
	v_add_nc_u32_e32 v3, v3, v6
	s_delay_alu instid0(VALU_DEP_1) | instskip(NEXT) | instid1(VALU_DEP_1)
	v_mul_hi_u32 v3, v4, v3
	v_mul_lo_u32 v3, v3, s6
	s_delay_alu instid0(VALU_DEP_1) | instskip(NEXT) | instid1(VALU_DEP_1)
	v_sub_nc_u32_e32 v3, v4, v3
	v_subrev_nc_u32_e32 v6, s6, v3
	v_cmp_le_u32_e32 vcc_lo, s6, v3
	s_delay_alu instid0(VALU_DEP_2) | instskip(NEXT) | instid1(VALU_DEP_1)
	v_cndmask_b32_e32 v3, v3, v6, vcc_lo
	v_subrev_nc_u32_e32 v6, s6, v3
	v_cmp_le_u32_e32 vcc_lo, s6, v3
	s_delay_alu instid0(VALU_DEP_2)
	v_cndmask_b32_e32 v6, v3, v6, vcc_lo
.LBB40_9:
	s_or_b32 exec_lo, exec_lo, s2
	v_dual_mov_b32 v10, 0 :: v_dual_bitop2_b32 v11, s9, v1 bitop3:0x54
                                        ; implicit-def: $vgpr8_vgpr9
	s_mov_b32 s2, exec_lo
	s_delay_alu instid0(VALU_DEP_1)
	v_cmpx_ne_u64_e32 0, v[10:11]
	s_xor_b32 s10, exec_lo, s2
	s_cbranch_execz .LBB40_11
; %bb.10:
	s_ashr_i32 s4, s9, 31
	s_mov_b32 s19, 0
	s_mov_b32 s5, s4
	v_dual_mov_b32 v3, v2 :: v_dual_mov_b32 v13, v10
	s_add_nc_u64 s[6:7], s[8:9], s[4:5]
	v_mov_b32_e32 v11, v10
	s_xor_b64 s[6:7], s[6:7], s[4:5]
	s_delay_alu instid0(VALU_DEP_2) | instskip(SKIP_4) | instid1(SALU_CYCLE_1)
	v_add_nc_u64_e32 v[8:9], v[0:1], v[2:3]
	s_cvt_f32_u32 s2, s6
	s_cvt_f32_u32 s5, s7
	s_sub_nc_u64 s[14:15], 0, s[6:7]
	v_dual_mov_b32 v15, v10 :: v_dual_mov_b32 v21, v10
	s_fmamk_f32 s2, s5, 0x4f800000, s2
	s_delay_alu instid0(VALU_DEP_2) | instskip(SKIP_3) | instid1(TRANS32_DEP_1)
	v_xor_b32_e32 v12, v8, v2
	v_xor_b32_e32 v14, v9, v2
	;; [unrolled: 1-line block ×3, first 2 shown]
	v_s_rcp_f32 s2, s2
	s_mul_f32 s2, s2, 0x5f7ffffc
	s_delay_alu instid0(SALU_CYCLE_3) | instskip(NEXT) | instid1(SALU_CYCLE_3)
	s_mul_f32 s5, s2, 0x2f800000
	s_trunc_f32 s5, s5
	s_delay_alu instid0(SALU_CYCLE_3) | instskip(SKIP_1) | instid1(SALU_CYCLE_2)
	s_fmamk_f32 s2, s5, 0xcf800000, s2
	s_cvt_u32_f32 s13, s5
	s_cvt_u32_f32 s12, s2
	s_delay_alu instid0(SALU_CYCLE_3) | instskip(NEXT) | instid1(SALU_CYCLE_1)
	s_mul_u64 s[16:17], s[14:15], s[12:13]
	s_mul_hi_u32 s21, s12, s17
	s_mul_i32 s20, s12, s17
	s_mul_hi_u32 s18, s12, s16
	s_mul_i32 s5, s13, s16
	s_add_nc_u64 s[20:21], s[18:19], s[20:21]
	s_mul_hi_u32 s2, s13, s16
	s_mul_hi_u32 s9, s13, s17
	s_add_co_u32 s5, s20, s5
	s_add_co_ci_u32 s18, s21, s2
	s_mul_i32 s16, s13, s17
	s_add_co_ci_u32 s17, s9, 0
	s_delay_alu instid0(SALU_CYCLE_1) | instskip(NEXT) | instid1(SALU_CYCLE_1)
	s_add_nc_u64 s[16:17], s[18:19], s[16:17]
	s_add_co_u32 s12, s12, s16
	s_cselect_b32 s2, -1, 0
	s_delay_alu instid0(SALU_CYCLE_1) | instskip(SKIP_1) | instid1(SALU_CYCLE_1)
	s_cmp_lg_u32 s2, 0
	s_add_co_ci_u32 s13, s13, s17
	s_mul_u64 s[14:15], s[14:15], s[12:13]
	s_delay_alu instid0(SALU_CYCLE_1)
	s_mul_hi_u32 s17, s12, s15
	s_mul_i32 s16, s12, s15
	s_mul_hi_u32 s18, s12, s14
	s_mul_i32 s5, s13, s14
	s_add_nc_u64 s[16:17], s[18:19], s[16:17]
	s_mul_hi_u32 s2, s13, s14
	s_mul_hi_u32 s9, s13, s15
	s_add_co_u32 s5, s16, s5
	s_add_co_ci_u32 s18, s17, s2
	s_mul_i32 s14, s13, s15
	s_add_co_ci_u32 s15, s9, 0
	s_delay_alu instid0(SALU_CYCLE_1) | instskip(NEXT) | instid1(SALU_CYCLE_1)
	s_add_nc_u64 s[14:15], s[18:19], s[14:15]
	s_add_co_u32 s2, s12, s14
	s_cselect_b32 s5, -1, 0
	v_nop
	v_mul_hi_u32 v20, v12, s2
	s_cmp_lg_u32 s5, 0
	s_add_co_ci_u32 s18, s13, s15
	s_mov_b64 s[12:13], 0xffffffff
	v_mul_u64_e32 v[16:17], s[18:19], v[12:13]
	s_and_b64 s[12:13], s[2:3], s[12:13]
	v_mul_u64_e32 v[18:19], s[18:19], v[14:15]
	v_mul_u64_e32 v[8:9], s[12:13], v[14:15]
	s_delay_alu instid0(VALU_DEP_3) | instskip(NEXT) | instid1(VALU_DEP_1)
	v_add_nc_u64_e32 v[16:17], v[20:21], v[16:17]
	v_add_co_u32 v3, vcc_lo, v16, v8
	s_delay_alu instid0(VALU_DEP_2) | instskip(SKIP_1) | instid1(VALU_DEP_1)
	v_add_co_ci_u32_e32 v10, vcc_lo, v17, v9, vcc_lo
	v_add_co_ci_u32_e32 v19, vcc_lo, 0, v19, vcc_lo
	v_add_nc_u64_e32 v[8:9], v[10:11], v[18:19]
	s_delay_alu instid0(VALU_DEP_1) | instskip(NEXT) | instid1(VALU_DEP_1)
	v_mul_u64_e32 v[10:11], s[6:7], v[8:9]
	v_sub_co_u32 v7, vcc_lo, v12, v10
	v_add_nc_u64_e32 v[12:13], 1, v[8:9]
	s_delay_alu instid0(VALU_DEP_3) | instskip(SKIP_1) | instid1(VALU_DEP_4)
	v_sub_nc_u32_e32 v3, v14, v11
	v_sub_co_ci_u32_e64 v14, null, v14, v11, vcc_lo
	v_sub_co_u32 v10, s2, v7, s6
	s_delay_alu instid0(VALU_DEP_3) | instskip(NEXT) | instid1(VALU_DEP_2)
	v_subrev_co_ci_u32_e64 v3, null, s7, v3, vcc_lo
	v_cmp_le_u32_e32 vcc_lo, s6, v10
	s_delay_alu instid0(VALU_DEP_2) | instskip(SKIP_1) | instid1(VALU_DEP_2)
	v_subrev_co_ci_u32_e64 v3, null, 0, v3, s2
	v_cndmask_b32_e64 v10, 0, -1, vcc_lo
	v_cmp_le_u32_e32 vcc_lo, s7, v3
	v_cndmask_b32_e64 v11, 0, -1, vcc_lo
	v_cmp_le_u32_e32 vcc_lo, s6, v7
	;; [unrolled: 2-line block ×3, first 2 shown]
	v_cndmask_b32_e64 v15, 0, -1, vcc_lo
	v_cmp_eq_u32_e32 vcc_lo, s7, v3
	v_cndmask_b32_e32 v3, v11, v10, vcc_lo
	v_cmp_eq_u32_e32 vcc_lo, s7, v14
	v_add_nc_u64_e32 v[10:11], 2, v[8:9]
	v_cndmask_b32_e32 v7, v15, v7, vcc_lo
	s_delay_alu instid0(VALU_DEP_4) | instskip(NEXT) | instid1(VALU_DEP_2)
	v_cmp_ne_u32_e32 vcc_lo, 0, v3
	v_cmp_ne_u32_e64 s2, 0, v7
	s_delay_alu instid0(VALU_DEP_4) | instskip(NEXT) | instid1(VALU_DEP_1)
	v_dual_cndmask_b32 v3, v13, v11, vcc_lo :: v_dual_cndmask_b32 v7, v12, v10, vcc_lo
	v_dual_cndmask_b32 v9, v9, v3, s2 :: v_dual_mov_b32 v3, v2
	s_delay_alu instid0(VALU_DEP_1) | instskip(NEXT) | instid1(VALU_DEP_1)
	v_dual_cndmask_b32 v7, v8, v7, s2 :: v_dual_bitop2_b32 v9, v9, v2 bitop3:0x14
	v_xor_b32_e32 v8, v7, v2
	s_delay_alu instid0(VALU_DEP_1)
	v_sub_nc_u64_e32 v[8:9], v[8:9], v[2:3]
.LBB40_11:
	s_and_not1_saveexec_b32 s2, s10
	s_cbranch_execz .LBB40_13
; %bb.12:
	v_cvt_f32_u32_e32 v2, s8
	s_sub_co_i32 s4, 0, s8
	s_delay_alu instid0(VALU_DEP_1) | instskip(SKIP_1) | instid1(TRANS32_DEP_1)
	v_rcp_iflag_f32_e32 v2, v2
	v_nop
	v_mul_f32_e32 v2, 0x4f7ffffe, v2
	s_delay_alu instid0(VALU_DEP_1) | instskip(NEXT) | instid1(VALU_DEP_1)
	v_cvt_u32_f32_e32 v2, v2
	v_mul_lo_u32 v3, s4, v2
	s_delay_alu instid0(VALU_DEP_1) | instskip(NEXT) | instid1(VALU_DEP_1)
	v_mul_hi_u32 v3, v2, v3
	v_add_nc_u32_e32 v2, v2, v3
	s_delay_alu instid0(VALU_DEP_1) | instskip(NEXT) | instid1(VALU_DEP_1)
	v_mul_hi_u32 v2, v0, v2
	v_mul_lo_u32 v3, v2, s8
	s_delay_alu instid0(VALU_DEP_1) | instskip(NEXT) | instid1(VALU_DEP_1)
	v_dual_add_nc_u32 v7, 1, v2 :: v_dual_sub_nc_u32 v3, v0, v3
	v_subrev_nc_u32_e32 v8, s8, v3
	v_cmp_le_u32_e32 vcc_lo, s8, v3
	s_delay_alu instid0(VALU_DEP_2) | instskip(NEXT) | instid1(VALU_DEP_1)
	v_dual_cndmask_b32 v3, v3, v8 :: v_dual_cndmask_b32 v2, v2, v7
	v_cmp_le_u32_e32 vcc_lo, s8, v3
	s_delay_alu instid0(VALU_DEP_2) | instskip(NEXT) | instid1(VALU_DEP_1)
	v_add_nc_u32_e32 v7, 1, v2
	v_cndmask_b32_e32 v8, v2, v7, vcc_lo
.LBB40_13:
	s_or_b32 exec_lo, exec_lo, s2
	s_clause 0x2
	s_load_b128 s[20:23], s[0:1], 0xb0
	s_load_b32 s28, s[0:1], 0xc0
	s_load_b512 s[4:19], s[0:1], 0x18
	s_bfe_u32 s2, ttmp6, 0x40014
	s_bfe_u32 s29, ttmp6, 0x40010
	s_load_b64 s[26:27], s[0:1], 0x0
	s_wait_kmcnt 0x0
	s_lshr_b32 s5, ttmp7, 16
	s_and_b32 s9, ttmp7, 0xffff
	s_add_co_i32 s2, s2, 1
	s_add_co_i32 s29, s29, 1
	s_bfe_u32 s7, ttmp6, 0x40008
	s_bfe_u32 s30, ttmp6, 0x40004
	s_mul_i32 s2, s5, s2
	s_mul_i32 s29, s9, s29
	s_add_co_i32 s7, s7, s2
	s_add_co_i32 s30, s30, s29
	s_cmp_eq_u32 s3, 0
	s_load_b64 s[2:3], s[0:1], 0xa8
	s_cselect_b32 s5, s5, s7
	s_cselect_b32 s7, s9, s30
	v_mul_u64_e32 v[4:5], s[24:25], v[4:5]
	s_add_co_i32 s28, s28, s5
	s_add_co_i32 s4, s20, s4
	s_sub_co_i32 s5, 0, s20
	s_add_co_i32 s4, s4, -1
	s_max_i32 s5, s5, 0
	v_maxmin_i32 v2, s20, v8, s4
	s_max_i32 s4, s20, 0
	s_add_co_i32 s30, s23, s7
	s_sub_co_i32 s4, s5, s4
	s_ashr_i32 s29, s28, 31
	v_add_nc_u32_e32 v7, s4, v2
	s_mul_u64 s[4:5], s[10:11], s[28:29]
	s_ashr_i32 s31, s30, 31
	s_add_nc_u64 s[4:5], s[26:27], s[4:5]
	s_mul_u64 s[10:11], s[12:13], s[30:31]
	s_delay_alu instid0(SALU_CYCLE_1) | instskip(NEXT) | instid1(SALU_CYCLE_1)
	s_add_nc_u64 s[4:5], s[4:5], s[10:11]
	v_mad_nc_u64_u32 v[2:3], s14, v7, s[4:5]
	s_add_co_i32 s5, s21, s6
	s_sub_co_i32 s4, 0, s21
	s_add_co_i32 s5, s5, -1
	s_max_i32 s4, s4, 0
	s_delay_alu instid0(VALU_DEP_1) | instskip(SKIP_3) | instid1(VALU_DEP_3)
	v_mad_u32 v3, s15, v7, v3
	v_ashrrev_i32_e32 v7, 31, v7
	v_sub_nc_u64_e32 v[0:1], v[0:1], v[4:5]
	v_ashrrev_i32_e32 v5, 31, v8
	v_mad_u32 v3, s14, v7, v3
	v_maxmin_i32 v7, s21, v6, s5
	s_max_i32 s5, s21, 0
	s_delay_alu instid0(SALU_CYCLE_1) | instskip(SKIP_1) | instid1(VALU_DEP_1)
	s_sub_co_i32 s4, s4, s5
	s_add_co_i32 s5, s22, s8
	v_add_nc_u32_e32 v7, s4, v7
	s_add_co_i32 s5, s5, -1
	s_sub_co_i32 s4, 0, s22
	s_delay_alu instid0(SALU_CYCLE_1) | instskip(NEXT) | instid1(VALU_DEP_1)
	s_max_i32 s4, s4, 0
	v_mad_nc_u64_u32 v[2:3], s16, v7, v[2:3]
	v_ashrrev_i32_e32 v4, 31, v7
	s_delay_alu instid0(VALU_DEP_2) | instskip(NEXT) | instid1(VALU_DEP_1)
	v_mad_u32 v3, s17, v7, v3
	v_mad_u32 v3, s16, v4, v3
	v_maxmin_i32 v4, s22, v0, s5
	s_max_i32 s5, s22, 0
	s_delay_alu instid0(SALU_CYCLE_1)
	s_sub_co_i32 s4, s4, s5
	s_delay_alu instid0(VALU_DEP_1) | instid1(SALU_CYCLE_1)
	v_add_nc_u32_e32 v4, s4, v4
	s_delay_alu instid0(VALU_DEP_1) | instskip(NEXT) | instid1(VALU_DEP_1)
	v_mad_nc_u64_u32 v[2:3], s18, v4, v[2:3]
	v_mad_u32 v3, s19, v4, v3
	v_ashrrev_i32_e32 v4, 31, v4
	s_delay_alu instid0(VALU_DEP_1)
	v_mad_u32 v3, s18, v4, v3
	global_load_u8 v4, v[2:3], off
	s_clause 0x1
	s_load_b256 s[4:11], s[0:1], 0x88
	s_load_b64 s[12:13], s[0:1], 0x58
	s_wait_kmcnt 0x0
	s_mul_u64 s[0:1], s[4:5], s[28:29]
	s_mul_u64 s[4:5], s[6:7], s[30:31]
	s_add_nc_u64 s[0:1], s[12:13], s[0:1]
	s_delay_alu instid0(SALU_CYCLE_1) | instskip(NEXT) | instid1(SALU_CYCLE_1)
	s_add_nc_u64 s[0:1], s[0:1], s[4:5]
	v_mad_nc_u64_u32 v[2:3], s8, v8, s[0:1]
	s_delay_alu instid0(VALU_DEP_1) | instskip(NEXT) | instid1(VALU_DEP_1)
	v_mad_u32 v3, s9, v8, v3
	v_mad_u32 v3, s8, v5, v3
	v_ashrrev_i32_e32 v5, 31, v6
	s_delay_alu instid0(VALU_DEP_2) | instskip(NEXT) | instid1(VALU_DEP_1)
	v_mad_nc_u64_u32 v[2:3], s10, v6, v[2:3]
	v_mad_u32 v3, s11, v6, v3
	s_delay_alu instid0(VALU_DEP_1) | instskip(NEXT) | instid1(VALU_DEP_1)
	v_mad_u32 v3, s10, v5, v3
	v_mad_nc_u64_u32 v[2:3], s2, v0, v[2:3]
	s_delay_alu instid0(VALU_DEP_1) | instskip(NEXT) | instid1(VALU_DEP_1)
	v_mad_u32 v0, s3, v0, v3
	v_mad_u32 v3, s2, v1, v0
	s_wait_loadcnt 0x0
	global_store_b8 v[2:3], v4, off
.LBB40_14:
	s_endpgm
	.section	.rodata,"a",@progbits
	.p2align	6, 0x0
	.amdhsa_kernel _ZN2at6native12_GLOBAL__N_132replication_pad_forward_kernel3dIhEEvN5torch10headeronly6detail27GenericPackedTensorAccessorINS5_14TensorAccessorIN3c108ArrayRefIlEEKT_Lm4ENS4_16DefaultPtrTraitsElEENS_6detail16IndexBoundsCheckILm5ElEESC_Lm5ESD_lEENS6_INS7_ISA_SB_Lm4ESD_lEESH_SB_Lm5ESD_lEEiiiii
		.amdhsa_group_segment_fixed_size 0
		.amdhsa_private_segment_fixed_size 0
		.amdhsa_kernarg_size 456
		.amdhsa_user_sgpr_count 2
		.amdhsa_user_sgpr_dispatch_ptr 0
		.amdhsa_user_sgpr_queue_ptr 0
		.amdhsa_user_sgpr_kernarg_segment_ptr 1
		.amdhsa_user_sgpr_dispatch_id 0
		.amdhsa_user_sgpr_kernarg_preload_length 0
		.amdhsa_user_sgpr_kernarg_preload_offset 0
		.amdhsa_user_sgpr_private_segment_size 0
		.amdhsa_wavefront_size32 1
		.amdhsa_uses_dynamic_stack 0
		.amdhsa_enable_private_segment 0
		.amdhsa_system_sgpr_workgroup_id_x 1
		.amdhsa_system_sgpr_workgroup_id_y 1
		.amdhsa_system_sgpr_workgroup_id_z 1
		.amdhsa_system_sgpr_workgroup_info 0
		.amdhsa_system_vgpr_workitem_id 0
		.amdhsa_next_free_vgpr 22
		.amdhsa_next_free_sgpr 32
		.amdhsa_named_barrier_count 0
		.amdhsa_reserve_vcc 1
		.amdhsa_float_round_mode_32 0
		.amdhsa_float_round_mode_16_64 0
		.amdhsa_float_denorm_mode_32 3
		.amdhsa_float_denorm_mode_16_64 3
		.amdhsa_fp16_overflow 0
		.amdhsa_memory_ordered 1
		.amdhsa_forward_progress 1
		.amdhsa_inst_pref_size 24
		.amdhsa_round_robin_scheduling 0
		.amdhsa_exception_fp_ieee_invalid_op 0
		.amdhsa_exception_fp_denorm_src 0
		.amdhsa_exception_fp_ieee_div_zero 0
		.amdhsa_exception_fp_ieee_overflow 0
		.amdhsa_exception_fp_ieee_underflow 0
		.amdhsa_exception_fp_ieee_inexact 0
		.amdhsa_exception_int_div_zero 0
	.end_amdhsa_kernel
	.section	.text._ZN2at6native12_GLOBAL__N_132replication_pad_forward_kernel3dIhEEvN5torch10headeronly6detail27GenericPackedTensorAccessorINS5_14TensorAccessorIN3c108ArrayRefIlEEKT_Lm4ENS4_16DefaultPtrTraitsElEENS_6detail16IndexBoundsCheckILm5ElEESC_Lm5ESD_lEENS6_INS7_ISA_SB_Lm4ESD_lEESH_SB_Lm5ESD_lEEiiiii,"axG",@progbits,_ZN2at6native12_GLOBAL__N_132replication_pad_forward_kernel3dIhEEvN5torch10headeronly6detail27GenericPackedTensorAccessorINS5_14TensorAccessorIN3c108ArrayRefIlEEKT_Lm4ENS4_16DefaultPtrTraitsElEENS_6detail16IndexBoundsCheckILm5ElEESC_Lm5ESD_lEENS6_INS7_ISA_SB_Lm4ESD_lEESH_SB_Lm5ESD_lEEiiiii,comdat
.Lfunc_end40:
	.size	_ZN2at6native12_GLOBAL__N_132replication_pad_forward_kernel3dIhEEvN5torch10headeronly6detail27GenericPackedTensorAccessorINS5_14TensorAccessorIN3c108ArrayRefIlEEKT_Lm4ENS4_16DefaultPtrTraitsElEENS_6detail16IndexBoundsCheckILm5ElEESC_Lm5ESD_lEENS6_INS7_ISA_SB_Lm4ESD_lEESH_SB_Lm5ESD_lEEiiiii, .Lfunc_end40-_ZN2at6native12_GLOBAL__N_132replication_pad_forward_kernel3dIhEEvN5torch10headeronly6detail27GenericPackedTensorAccessorINS5_14TensorAccessorIN3c108ArrayRefIlEEKT_Lm4ENS4_16DefaultPtrTraitsElEENS_6detail16IndexBoundsCheckILm5ElEESC_Lm5ESD_lEENS6_INS7_ISA_SB_Lm4ESD_lEESH_SB_Lm5ESD_lEEiiiii
                                        ; -- End function
	.set _ZN2at6native12_GLOBAL__N_132replication_pad_forward_kernel3dIhEEvN5torch10headeronly6detail27GenericPackedTensorAccessorINS5_14TensorAccessorIN3c108ArrayRefIlEEKT_Lm4ENS4_16DefaultPtrTraitsElEENS_6detail16IndexBoundsCheckILm5ElEESC_Lm5ESD_lEENS6_INS7_ISA_SB_Lm4ESD_lEESH_SB_Lm5ESD_lEEiiiii.num_vgpr, 22
	.set _ZN2at6native12_GLOBAL__N_132replication_pad_forward_kernel3dIhEEvN5torch10headeronly6detail27GenericPackedTensorAccessorINS5_14TensorAccessorIN3c108ArrayRefIlEEKT_Lm4ENS4_16DefaultPtrTraitsElEENS_6detail16IndexBoundsCheckILm5ElEESC_Lm5ESD_lEENS6_INS7_ISA_SB_Lm4ESD_lEESH_SB_Lm5ESD_lEEiiiii.num_agpr, 0
	.set _ZN2at6native12_GLOBAL__N_132replication_pad_forward_kernel3dIhEEvN5torch10headeronly6detail27GenericPackedTensorAccessorINS5_14TensorAccessorIN3c108ArrayRefIlEEKT_Lm4ENS4_16DefaultPtrTraitsElEENS_6detail16IndexBoundsCheckILm5ElEESC_Lm5ESD_lEENS6_INS7_ISA_SB_Lm4ESD_lEESH_SB_Lm5ESD_lEEiiiii.numbered_sgpr, 32
	.set _ZN2at6native12_GLOBAL__N_132replication_pad_forward_kernel3dIhEEvN5torch10headeronly6detail27GenericPackedTensorAccessorINS5_14TensorAccessorIN3c108ArrayRefIlEEKT_Lm4ENS4_16DefaultPtrTraitsElEENS_6detail16IndexBoundsCheckILm5ElEESC_Lm5ESD_lEENS6_INS7_ISA_SB_Lm4ESD_lEESH_SB_Lm5ESD_lEEiiiii.num_named_barrier, 0
	.set _ZN2at6native12_GLOBAL__N_132replication_pad_forward_kernel3dIhEEvN5torch10headeronly6detail27GenericPackedTensorAccessorINS5_14TensorAccessorIN3c108ArrayRefIlEEKT_Lm4ENS4_16DefaultPtrTraitsElEENS_6detail16IndexBoundsCheckILm5ElEESC_Lm5ESD_lEENS6_INS7_ISA_SB_Lm4ESD_lEESH_SB_Lm5ESD_lEEiiiii.private_seg_size, 0
	.set _ZN2at6native12_GLOBAL__N_132replication_pad_forward_kernel3dIhEEvN5torch10headeronly6detail27GenericPackedTensorAccessorINS5_14TensorAccessorIN3c108ArrayRefIlEEKT_Lm4ENS4_16DefaultPtrTraitsElEENS_6detail16IndexBoundsCheckILm5ElEESC_Lm5ESD_lEENS6_INS7_ISA_SB_Lm4ESD_lEESH_SB_Lm5ESD_lEEiiiii.uses_vcc, 1
	.set _ZN2at6native12_GLOBAL__N_132replication_pad_forward_kernel3dIhEEvN5torch10headeronly6detail27GenericPackedTensorAccessorINS5_14TensorAccessorIN3c108ArrayRefIlEEKT_Lm4ENS4_16DefaultPtrTraitsElEENS_6detail16IndexBoundsCheckILm5ElEESC_Lm5ESD_lEENS6_INS7_ISA_SB_Lm4ESD_lEESH_SB_Lm5ESD_lEEiiiii.uses_flat_scratch, 0
	.set _ZN2at6native12_GLOBAL__N_132replication_pad_forward_kernel3dIhEEvN5torch10headeronly6detail27GenericPackedTensorAccessorINS5_14TensorAccessorIN3c108ArrayRefIlEEKT_Lm4ENS4_16DefaultPtrTraitsElEENS_6detail16IndexBoundsCheckILm5ElEESC_Lm5ESD_lEENS6_INS7_ISA_SB_Lm4ESD_lEESH_SB_Lm5ESD_lEEiiiii.has_dyn_sized_stack, 0
	.set _ZN2at6native12_GLOBAL__N_132replication_pad_forward_kernel3dIhEEvN5torch10headeronly6detail27GenericPackedTensorAccessorINS5_14TensorAccessorIN3c108ArrayRefIlEEKT_Lm4ENS4_16DefaultPtrTraitsElEENS_6detail16IndexBoundsCheckILm5ElEESC_Lm5ESD_lEENS6_INS7_ISA_SB_Lm4ESD_lEESH_SB_Lm5ESD_lEEiiiii.has_recursion, 0
	.set _ZN2at6native12_GLOBAL__N_132replication_pad_forward_kernel3dIhEEvN5torch10headeronly6detail27GenericPackedTensorAccessorINS5_14TensorAccessorIN3c108ArrayRefIlEEKT_Lm4ENS4_16DefaultPtrTraitsElEENS_6detail16IndexBoundsCheckILm5ElEESC_Lm5ESD_lEENS6_INS7_ISA_SB_Lm4ESD_lEESH_SB_Lm5ESD_lEEiiiii.has_indirect_call, 0
	.section	.AMDGPU.csdata,"",@progbits
; Kernel info:
; codeLenInByte = 2964
; TotalNumSgprs: 34
; NumVgprs: 22
; ScratchSize: 0
; MemoryBound: 0
; FloatMode: 240
; IeeeMode: 1
; LDSByteSize: 0 bytes/workgroup (compile time only)
; SGPRBlocks: 0
; VGPRBlocks: 1
; NumSGPRsForWavesPerEU: 34
; NumVGPRsForWavesPerEU: 22
; NamedBarCnt: 0
; Occupancy: 16
; WaveLimiterHint : 1
; COMPUTE_PGM_RSRC2:SCRATCH_EN: 0
; COMPUTE_PGM_RSRC2:USER_SGPR: 2
; COMPUTE_PGM_RSRC2:TRAP_HANDLER: 0
; COMPUTE_PGM_RSRC2:TGID_X_EN: 1
; COMPUTE_PGM_RSRC2:TGID_Y_EN: 1
; COMPUTE_PGM_RSRC2:TGID_Z_EN: 1
; COMPUTE_PGM_RSRC2:TIDIG_COMP_CNT: 0
	.section	.text._ZN2at6native12_GLOBAL__N_132replication_pad_forward_kernel3dIaEEvN5torch10headeronly6detail27GenericPackedTensorAccessorINS5_14TensorAccessorIN3c108ArrayRefIlEEKT_Lm4ENS4_16DefaultPtrTraitsElEENS_6detail16IndexBoundsCheckILm5ElEESC_Lm5ESD_lEENS6_INS7_ISA_SB_Lm4ESD_lEESH_SB_Lm5ESD_lEEiiiii,"axG",@progbits,_ZN2at6native12_GLOBAL__N_132replication_pad_forward_kernel3dIaEEvN5torch10headeronly6detail27GenericPackedTensorAccessorINS5_14TensorAccessorIN3c108ArrayRefIlEEKT_Lm4ENS4_16DefaultPtrTraitsElEENS_6detail16IndexBoundsCheckILm5ElEESC_Lm5ESD_lEENS6_INS7_ISA_SB_Lm4ESD_lEESH_SB_Lm5ESD_lEEiiiii,comdat
	.globl	_ZN2at6native12_GLOBAL__N_132replication_pad_forward_kernel3dIaEEvN5torch10headeronly6detail27GenericPackedTensorAccessorINS5_14TensorAccessorIN3c108ArrayRefIlEEKT_Lm4ENS4_16DefaultPtrTraitsElEENS_6detail16IndexBoundsCheckILm5ElEESC_Lm5ESD_lEENS6_INS7_ISA_SB_Lm4ESD_lEESH_SB_Lm5ESD_lEEiiiii ; -- Begin function _ZN2at6native12_GLOBAL__N_132replication_pad_forward_kernel3dIaEEvN5torch10headeronly6detail27GenericPackedTensorAccessorINS5_14TensorAccessorIN3c108ArrayRefIlEEKT_Lm4ENS4_16DefaultPtrTraitsElEENS_6detail16IndexBoundsCheckILm5ElEESC_Lm5ESD_lEENS6_INS7_ISA_SB_Lm4ESD_lEESH_SB_Lm5ESD_lEEiiiii
	.p2align	8
	.type	_ZN2at6native12_GLOBAL__N_132replication_pad_forward_kernel3dIaEEvN5torch10headeronly6detail27GenericPackedTensorAccessorINS5_14TensorAccessorIN3c108ArrayRefIlEEKT_Lm4ENS4_16DefaultPtrTraitsElEENS_6detail16IndexBoundsCheckILm5ElEESC_Lm5ESD_lEENS6_INS7_ISA_SB_Lm4ESD_lEESH_SB_Lm5ESD_lEEiiiii,@function
_ZN2at6native12_GLOBAL__N_132replication_pad_forward_kernel3dIaEEvN5torch10headeronly6detail27GenericPackedTensorAccessorINS5_14TensorAccessorIN3c108ArrayRefIlEEKT_Lm4ENS4_16DefaultPtrTraitsElEENS_6detail16IndexBoundsCheckILm5ElEESC_Lm5ESD_lEENS6_INS7_ISA_SB_Lm4ESD_lEESH_SB_Lm5ESD_lEEiiiii: ; @_ZN2at6native12_GLOBAL__N_132replication_pad_forward_kernel3dIaEEvN5torch10headeronly6detail27GenericPackedTensorAccessorINS5_14TensorAccessorIN3c108ArrayRefIlEEKT_Lm4ENS4_16DefaultPtrTraitsElEENS_6detail16IndexBoundsCheckILm5ElEESC_Lm5ESD_lEENS6_INS7_ISA_SB_Lm4ESD_lEESH_SB_Lm5ESD_lEEiiiii
; %bb.0:
	s_load_b32 s2, s[0:1], 0xd4
	s_bfe_u32 s4, ttmp6, 0x4000c
	s_and_b32 s8, ttmp6, 15
	s_add_co_i32 s9, s4, 1
	s_clause 0x1
	s_load_b128 s[4:7], s[0:1], 0x70
	s_load_b64 s[24:25], s[0:1], 0x80
	s_mul_i32 s9, ttmp9, s9
	s_getreg_b32 s3, hwreg(HW_REG_IB_STS2, 6, 4)
	s_add_co_i32 s8, s8, s9
	s_wait_kmcnt 0x0
	s_and_b32 s2, s2, 0xffff
	s_cmp_eq_u32 s3, 0
	s_cselect_b32 s8, ttmp9, s8
	s_delay_alu instid0(SALU_CYCLE_1) | instskip(SKIP_3) | instid1(VALU_DEP_1)
	v_mad_u32 v0, s8, s2, v0
	s_mul_u64 s[8:9], s[24:25], s[6:7]
	s_mov_b32 s2, exec_lo
	s_mul_u64 s[4:5], s[8:9], s[4:5]
	v_ashrrev_i32_e32 v1, 31, v0
	s_delay_alu instid0(VALU_DEP_1)
	v_cmpx_gt_i64_e64 s[4:5], v[0:1]
	s_cbranch_execz .LBB41_14
; %bb.1:
	v_dual_mov_b32 v6, 0 :: v_dual_bitop2_b32 v7, s25, v1 bitop3:0x54
	v_ashrrev_i32_e32 v2, 31, v1
                                        ; implicit-def: $vgpr4_vgpr5
	s_mov_b32 s2, exec_lo
	s_delay_alu instid0(VALU_DEP_2)
	v_cmpx_ne_u64_e32 0, v[6:7]
	s_xor_b32 s12, exec_lo, s2
	s_cbranch_execz .LBB41_3
; %bb.2:
	s_ashr_i32 s4, s25, 31
	s_mov_b32 s21, 0
	s_mov_b32 s5, s4
	v_dual_mov_b32 v3, v2 :: v_dual_mov_b32 v9, v6
	s_add_nc_u64 s[10:11], s[24:25], s[4:5]
	v_mov_b32_e32 v7, v6
	s_xor_b64 s[10:11], s[10:11], s[4:5]
	s_delay_alu instid0(VALU_DEP_2) | instskip(SKIP_4) | instid1(SALU_CYCLE_1)
	v_add_nc_u64_e32 v[4:5], v[0:1], v[2:3]
	s_cvt_f32_u32 s2, s10
	s_cvt_f32_u32 s5, s11
	s_sub_nc_u64 s[16:17], 0, s[10:11]
	v_dual_mov_b32 v11, v6 :: v_dual_mov_b32 v17, v6
	s_fmamk_f32 s2, s5, 0x4f800000, s2
	s_delay_alu instid0(VALU_DEP_2) | instskip(SKIP_1) | instid1(SALU_CYCLE_1)
	v_xor_b32_e32 v8, v4, v2
	v_xor_b32_e32 v10, v5, v2
	v_s_rcp_f32 s2, s2
	s_delay_alu instid0(TRANS32_DEP_1) | instskip(NEXT) | instid1(SALU_CYCLE_3)
	s_mul_f32 s2, s2, 0x5f7ffffc
	s_mul_f32 s5, s2, 0x2f800000
	s_delay_alu instid0(SALU_CYCLE_3) | instskip(NEXT) | instid1(SALU_CYCLE_3)
	s_trunc_f32 s5, s5
	s_fmamk_f32 s2, s5, 0xcf800000, s2
	s_cvt_u32_f32 s15, s5
	s_delay_alu instid0(SALU_CYCLE_2) | instskip(NEXT) | instid1(SALU_CYCLE_3)
	s_cvt_u32_f32 s14, s2
	s_mul_u64 s[18:19], s[16:17], s[14:15]
	s_delay_alu instid0(SALU_CYCLE_1)
	s_mul_hi_u32 s23, s14, s19
	s_mul_i32 s22, s14, s19
	s_mul_hi_u32 s20, s14, s18
	s_mul_i32 s5, s15, s18
	s_add_nc_u64 s[22:23], s[20:21], s[22:23]
	s_mul_hi_u32 s2, s15, s18
	s_mul_hi_u32 s13, s15, s19
	s_add_co_u32 s5, s22, s5
	s_add_co_ci_u32 s20, s23, s2
	s_mul_i32 s18, s15, s19
	s_add_co_ci_u32 s19, s13, 0
	s_delay_alu instid0(SALU_CYCLE_1) | instskip(NEXT) | instid1(SALU_CYCLE_1)
	s_add_nc_u64 s[18:19], s[20:21], s[18:19]
	s_add_co_u32 s14, s14, s18
	s_cselect_b32 s2, -1, 0
	s_delay_alu instid0(SALU_CYCLE_1) | instskip(SKIP_1) | instid1(SALU_CYCLE_1)
	s_cmp_lg_u32 s2, 0
	s_add_co_ci_u32 s15, s15, s19
	s_mul_u64 s[16:17], s[16:17], s[14:15]
	s_delay_alu instid0(SALU_CYCLE_1)
	s_mul_hi_u32 s19, s14, s17
	s_mul_i32 s18, s14, s17
	s_mul_hi_u32 s20, s14, s16
	s_mul_i32 s5, s15, s16
	s_add_nc_u64 s[18:19], s[20:21], s[18:19]
	s_mul_hi_u32 s2, s15, s16
	s_mul_hi_u32 s13, s15, s17
	s_add_co_u32 s5, s18, s5
	s_add_co_ci_u32 s20, s19, s2
	s_mul_i32 s16, s15, s17
	s_add_co_ci_u32 s17, s13, 0
	s_delay_alu instid0(SALU_CYCLE_1) | instskip(NEXT) | instid1(SALU_CYCLE_1)
	s_add_nc_u64 s[16:17], s[20:21], s[16:17]
	s_add_co_u32 s2, s14, s16
	s_cselect_b32 s5, -1, 0
	v_nop
	v_mul_hi_u32 v16, v8, s2
	s_cmp_lg_u32 s5, 0
	s_add_co_ci_u32 s20, s15, s17
	s_mov_b64 s[14:15], 0xffffffff
	v_mul_u64_e32 v[12:13], s[20:21], v[8:9]
	s_and_b64 s[14:15], s[2:3], s[14:15]
	v_mul_u64_e32 v[14:15], s[20:21], v[10:11]
	v_mul_u64_e32 v[4:5], s[14:15], v[10:11]
	s_delay_alu instid0(VALU_DEP_3) | instskip(NEXT) | instid1(VALU_DEP_1)
	v_add_nc_u64_e32 v[12:13], v[16:17], v[12:13]
	v_add_co_u32 v3, vcc_lo, v12, v4
	s_delay_alu instid0(VALU_DEP_2) | instskip(SKIP_1) | instid1(VALU_DEP_1)
	v_add_co_ci_u32_e32 v6, vcc_lo, v13, v5, vcc_lo
	v_add_co_ci_u32_e32 v15, vcc_lo, 0, v15, vcc_lo
	v_add_nc_u64_e32 v[4:5], v[6:7], v[14:15]
	s_delay_alu instid0(VALU_DEP_1) | instskip(NEXT) | instid1(VALU_DEP_1)
	v_mul_u64_e32 v[6:7], s[10:11], v[4:5]
	v_sub_nc_u32_e32 v3, v10, v7
	s_delay_alu instid0(VALU_DEP_2) | instskip(NEXT) | instid1(VALU_DEP_1)
	v_sub_co_u32 v6, vcc_lo, v8, v6
	v_sub_co_ci_u32_e64 v10, null, v10, v7, vcc_lo
	s_delay_alu instid0(VALU_DEP_3) | instskip(NEXT) | instid1(VALU_DEP_3)
	v_subrev_co_ci_u32_e64 v3, null, s11, v3, vcc_lo
	v_sub_co_u32 v8, s2, v6, s10
	s_delay_alu instid0(VALU_DEP_1) | instskip(NEXT) | instid1(VALU_DEP_2)
	v_subrev_co_ci_u32_e64 v3, null, 0, v3, s2
	v_cmp_le_u32_e32 vcc_lo, s10, v8
	v_cndmask_b32_e64 v7, 0, -1, vcc_lo
	s_delay_alu instid0(VALU_DEP_3)
	v_cmp_le_u32_e32 vcc_lo, s11, v3
	v_cndmask_b32_e64 v8, 0, -1, vcc_lo
	v_cmp_le_u32_e32 vcc_lo, s10, v6
	v_cndmask_b32_e64 v11, 0, -1, vcc_lo
	;; [unrolled: 2-line block ×3, first 2 shown]
	v_cmp_eq_u32_e32 vcc_lo, s11, v3
	v_cndmask_b32_e32 v3, v8, v7, vcc_lo
	v_cmp_eq_u32_e32 vcc_lo, s11, v10
	v_add_nc_u64_e32 v[6:7], 2, v[4:5]
	v_add_nc_u64_e32 v[8:9], 1, v[4:5]
	v_cndmask_b32_e32 v10, v12, v11, vcc_lo
	v_cmp_ne_u32_e32 vcc_lo, 0, v3
	s_delay_alu instid0(VALU_DEP_2) | instskip(NEXT) | instid1(VALU_DEP_4)
	v_cmp_ne_u32_e64 s2, 0, v10
	v_dual_cndmask_b32 v3, v9, v7, vcc_lo :: v_dual_cndmask_b32 v7, v8, v6, vcc_lo
	s_delay_alu instid0(VALU_DEP_1) | instskip(NEXT) | instid1(VALU_DEP_1)
	v_dual_cndmask_b32 v4, v4, v7, s2 :: v_dual_bitop2_b32 v6, s4, v2 bitop3:0x14
	v_dual_cndmask_b32 v3, v5, v3, s2 :: v_dual_mov_b32 v7, v6
	s_delay_alu instid0(VALU_DEP_2) | instskip(NEXT) | instid1(VALU_DEP_2)
	v_xor_b32_e32 v4, v4, v6
	v_xor_b32_e32 v5, v3, v6
	s_delay_alu instid0(VALU_DEP_1)
	v_sub_nc_u64_e32 v[4:5], v[4:5], v[6:7]
.LBB41_3:
	s_and_not1_saveexec_b32 s2, s12
	s_cbranch_execz .LBB41_5
; %bb.4:
	v_cvt_f32_u32_e32 v3, s24
	s_sub_co_i32 s4, 0, s24
	s_delay_alu instid0(VALU_DEP_1) | instskip(SKIP_1) | instid1(TRANS32_DEP_1)
	v_rcp_iflag_f32_e32 v3, v3
	v_nop
	v_mul_f32_e32 v3, 0x4f7ffffe, v3
	s_delay_alu instid0(VALU_DEP_1) | instskip(NEXT) | instid1(VALU_DEP_1)
	v_cvt_u32_f32_e32 v3, v3
	v_mul_lo_u32 v4, s4, v3
	s_delay_alu instid0(VALU_DEP_1) | instskip(NEXT) | instid1(VALU_DEP_1)
	v_mul_hi_u32 v4, v3, v4
	v_add_nc_u32_e32 v3, v3, v4
	s_delay_alu instid0(VALU_DEP_1) | instskip(NEXT) | instid1(VALU_DEP_1)
	v_mul_hi_u32 v3, v0, v3
	v_mul_lo_u32 v4, v3, s24
	s_delay_alu instid0(VALU_DEP_1) | instskip(NEXT) | instid1(VALU_DEP_1)
	v_dual_add_nc_u32 v5, 1, v3 :: v_dual_sub_nc_u32 v4, v0, v4
	v_subrev_nc_u32_e32 v6, s24, v4
	v_cmp_le_u32_e32 vcc_lo, s24, v4
	s_delay_alu instid0(VALU_DEP_2) | instskip(NEXT) | instid1(VALU_DEP_1)
	v_dual_cndmask_b32 v4, v4, v6 :: v_dual_cndmask_b32 v3, v3, v5
	v_cmp_le_u32_e32 vcc_lo, s24, v4
	s_delay_alu instid0(VALU_DEP_2) | instskip(NEXT) | instid1(VALU_DEP_1)
	v_add_nc_u32_e32 v5, 1, v3
	v_dual_cndmask_b32 v4, v3, v5 :: v_dual_mov_b32 v5, 0
.LBB41_5:
	s_or_b32 exec_lo, exec_lo, s2
	s_delay_alu instid0(VALU_DEP_1) | instskip(SKIP_1) | instid1(VALU_DEP_1)
	v_dual_mov_b32 v8, 0 :: v_dual_bitop2_b32 v9, s7, v5 bitop3:0x54
                                        ; implicit-def: $vgpr6_vgpr7
	s_mov_b32 s2, exec_lo
	v_cmpx_ne_u64_e32 0, v[8:9]
	s_xor_b32 s10, exec_lo, s2
	s_cbranch_execz .LBB41_7
; %bb.6:
	s_ashr_i32 s4, s7, 31
	s_mov_b32 s19, 0
	s_mov_b32 s5, s4
	v_dual_mov_b32 v13, v8 :: v_dual_ashrrev_i32 v6, 31, v5
	s_add_nc_u64 s[12:13], s[6:7], s[4:5]
	v_mov_b32_e32 v15, v8
	s_xor_b64 s[4:5], s[12:13], s[4:5]
	s_delay_alu instid0(VALU_DEP_2)
	v_mov_b32_e32 v7, v6
	s_cvt_f32_u32 s2, s4
	s_cvt_f32_u32 s7, s5
	s_sub_nc_u64 s[14:15], 0, s[4:5]
	v_mov_b32_e32 v21, v8
	v_add_nc_u64_e32 v[10:11], v[4:5], v[6:7]
	s_fmamk_f32 s2, s7, 0x4f800000, s2
	v_mov_b32_e32 v9, v8
	s_delay_alu instid0(SALU_CYCLE_2) | instskip(NEXT) | instid1(VALU_DEP_2)
	v_s_rcp_f32 s2, s2
	v_xor_b32_e32 v12, v10, v6
	s_delay_alu instid0(VALU_DEP_3) | instskip(NEXT) | instid1(TRANS32_DEP_1)
	v_xor_b32_e32 v14, v11, v6
	s_mul_f32 s2, s2, 0x5f7ffffc
	s_delay_alu instid0(SALU_CYCLE_3) | instskip(NEXT) | instid1(SALU_CYCLE_3)
	s_mul_f32 s7, s2, 0x2f800000
	s_trunc_f32 s7, s7
	s_delay_alu instid0(SALU_CYCLE_3) | instskip(SKIP_1) | instid1(SALU_CYCLE_2)
	s_fmamk_f32 s2, s7, 0xcf800000, s2
	s_cvt_u32_f32 s13, s7
	s_cvt_u32_f32 s12, s2
	s_delay_alu instid0(SALU_CYCLE_3) | instskip(NEXT) | instid1(SALU_CYCLE_1)
	s_mul_u64 s[16:17], s[14:15], s[12:13]
	s_mul_hi_u32 s21, s12, s17
	s_mul_i32 s20, s12, s17
	s_mul_hi_u32 s18, s12, s16
	s_mul_i32 s7, s13, s16
	s_add_nc_u64 s[20:21], s[18:19], s[20:21]
	s_mul_hi_u32 s2, s13, s16
	s_mul_hi_u32 s11, s13, s17
	s_add_co_u32 s7, s20, s7
	s_add_co_ci_u32 s18, s21, s2
	s_mul_i32 s16, s13, s17
	s_add_co_ci_u32 s17, s11, 0
	s_delay_alu instid0(SALU_CYCLE_1) | instskip(NEXT) | instid1(SALU_CYCLE_1)
	s_add_nc_u64 s[16:17], s[18:19], s[16:17]
	s_add_co_u32 s12, s12, s16
	s_cselect_b32 s2, -1, 0
	s_delay_alu instid0(SALU_CYCLE_1) | instskip(SKIP_1) | instid1(SALU_CYCLE_1)
	s_cmp_lg_u32 s2, 0
	s_add_co_ci_u32 s13, s13, s17
	s_mul_u64 s[14:15], s[14:15], s[12:13]
	s_delay_alu instid0(SALU_CYCLE_1)
	s_mul_hi_u32 s17, s12, s15
	s_mul_i32 s16, s12, s15
	s_mul_hi_u32 s18, s12, s14
	s_mul_i32 s7, s13, s14
	s_add_nc_u64 s[16:17], s[18:19], s[16:17]
	s_mul_hi_u32 s2, s13, s14
	s_mul_hi_u32 s11, s13, s15
	s_add_co_u32 s7, s16, s7
	s_add_co_ci_u32 s18, s17, s2
	s_mul_i32 s14, s13, s15
	s_add_co_ci_u32 s15, s11, 0
	s_delay_alu instid0(SALU_CYCLE_1) | instskip(NEXT) | instid1(SALU_CYCLE_1)
	s_add_nc_u64 s[14:15], s[18:19], s[14:15]
	s_add_co_u32 s2, s12, s14
	s_cselect_b32 s7, -1, 0
	v_mul_hi_u32 v20, v12, s2
	s_cmp_lg_u32 s7, 0
	s_add_co_ci_u32 s18, s13, s15
	s_mov_b64 s[12:13], 0xffffffff
	v_mul_u64_e32 v[16:17], s[18:19], v[12:13]
	s_and_b64 s[12:13], s[2:3], s[12:13]
	v_mul_u64_e32 v[18:19], s[18:19], v[14:15]
	v_mul_u64_e32 v[10:11], s[12:13], v[14:15]
	s_delay_alu instid0(VALU_DEP_3) | instskip(NEXT) | instid1(VALU_DEP_1)
	v_add_nc_u64_e32 v[16:17], v[20:21], v[16:17]
	v_add_co_u32 v3, vcc_lo, v16, v10
	s_delay_alu instid0(VALU_DEP_2) | instskip(SKIP_1) | instid1(VALU_DEP_1)
	v_add_co_ci_u32_e32 v8, vcc_lo, v17, v11, vcc_lo
	v_add_co_ci_u32_e32 v19, vcc_lo, 0, v19, vcc_lo
	v_add_nc_u64_e32 v[8:9], v[8:9], v[18:19]
	s_delay_alu instid0(VALU_DEP_1) | instskip(NEXT) | instid1(VALU_DEP_1)
	v_mul_u64_e32 v[8:9], s[4:5], v[8:9]
	v_sub_co_u32 v8, vcc_lo, v12, v8
	s_delay_alu instid0(VALU_DEP_1) | instskip(NEXT) | instid1(VALU_DEP_1)
	v_cmp_le_u32_e64 s2, s4, v8
	v_cndmask_b32_e64 v12, 0, -1, s2
	s_delay_alu instid0(VALU_DEP_4) | instskip(SKIP_1) | instid1(VALU_DEP_2)
	v_sub_nc_u32_e32 v3, v14, v9
	v_sub_co_ci_u32_e64 v9, null, v14, v9, vcc_lo
	v_subrev_co_ci_u32_e64 v3, null, s5, v3, vcc_lo
	v_sub_co_u32 v10, vcc_lo, v8, s4
	s_delay_alu instid0(VALU_DEP_1) | instskip(NEXT) | instid1(VALU_DEP_2)
	v_subrev_co_ci_u32_e64 v11, null, 0, v3, vcc_lo
	v_cmp_le_u32_e64 s2, s4, v10
	v_subrev_co_ci_u32_e64 v3, null, s5, v3, vcc_lo
	v_cmp_le_u32_e32 vcc_lo, s5, v9
	s_delay_alu instid0(VALU_DEP_3) | instskip(SKIP_3) | instid1(VALU_DEP_3)
	v_cndmask_b32_e64 v13, 0, -1, s2
	v_cmp_le_u32_e64 s2, s5, v11
	v_cndmask_b32_e64 v15, 0, -1, vcc_lo
	v_cmp_eq_u32_e32 vcc_lo, s5, v11
	v_cndmask_b32_e64 v14, 0, -1, s2
	v_cmp_eq_u32_e64 s2, s5, v9
	s_delay_alu instid0(VALU_DEP_2) | instskip(SKIP_1) | instid1(VALU_DEP_1)
	v_cndmask_b32_e32 v13, v14, v13, vcc_lo
	v_sub_co_u32 v14, vcc_lo, v10, s4
	v_subrev_co_ci_u32_e64 v3, null, 0, v3, vcc_lo
	s_delay_alu instid0(VALU_DEP_3) | instskip(SKIP_1) | instid1(VALU_DEP_3)
	v_cmp_ne_u32_e32 vcc_lo, 0, v13
	v_cndmask_b32_e64 v12, v15, v12, s2
	v_dual_cndmask_b32 v3, v11, v3 :: v_dual_cndmask_b32 v10, v10, v14
	s_delay_alu instid0(VALU_DEP_2) | instskip(NEXT) | instid1(VALU_DEP_2)
	v_cmp_ne_u32_e32 vcc_lo, 0, v12
	v_dual_cndmask_b32 v3, v9, v3 :: v_dual_cndmask_b32 v8, v8, v10
	s_delay_alu instid0(VALU_DEP_1) | instskip(NEXT) | instid1(VALU_DEP_2)
	v_xor_b32_e32 v9, v3, v6
	v_xor_b32_e32 v8, v8, v6
	s_delay_alu instid0(VALU_DEP_1)
	v_sub_nc_u64_e32 v[6:7], v[8:9], v[6:7]
.LBB41_7:
	s_and_not1_saveexec_b32 s2, s10
	s_cbranch_execz .LBB41_9
; %bb.8:
	v_cvt_f32_u32_e32 v3, s6
	s_sub_co_i32 s4, 0, s6
	s_delay_alu instid0(VALU_DEP_1) | instskip(SKIP_1) | instid1(TRANS32_DEP_1)
	v_rcp_iflag_f32_e32 v3, v3
	v_nop
	v_mul_f32_e32 v3, 0x4f7ffffe, v3
	s_delay_alu instid0(VALU_DEP_1) | instskip(NEXT) | instid1(VALU_DEP_1)
	v_cvt_u32_f32_e32 v3, v3
	v_mul_lo_u32 v6, s4, v3
	s_delay_alu instid0(VALU_DEP_1) | instskip(NEXT) | instid1(VALU_DEP_1)
	v_mul_hi_u32 v6, v3, v6
	v_add_nc_u32_e32 v3, v3, v6
	s_delay_alu instid0(VALU_DEP_1) | instskip(NEXT) | instid1(VALU_DEP_1)
	v_mul_hi_u32 v3, v4, v3
	v_mul_lo_u32 v3, v3, s6
	s_delay_alu instid0(VALU_DEP_1) | instskip(NEXT) | instid1(VALU_DEP_1)
	v_sub_nc_u32_e32 v3, v4, v3
	v_subrev_nc_u32_e32 v6, s6, v3
	v_cmp_le_u32_e32 vcc_lo, s6, v3
	s_delay_alu instid0(VALU_DEP_2) | instskip(NEXT) | instid1(VALU_DEP_1)
	v_cndmask_b32_e32 v3, v3, v6, vcc_lo
	v_subrev_nc_u32_e32 v6, s6, v3
	v_cmp_le_u32_e32 vcc_lo, s6, v3
	s_delay_alu instid0(VALU_DEP_2)
	v_cndmask_b32_e32 v6, v3, v6, vcc_lo
.LBB41_9:
	s_or_b32 exec_lo, exec_lo, s2
	v_dual_mov_b32 v10, 0 :: v_dual_bitop2_b32 v11, s9, v1 bitop3:0x54
                                        ; implicit-def: $vgpr8_vgpr9
	s_mov_b32 s2, exec_lo
	s_delay_alu instid0(VALU_DEP_1)
	v_cmpx_ne_u64_e32 0, v[10:11]
	s_xor_b32 s10, exec_lo, s2
	s_cbranch_execz .LBB41_11
; %bb.10:
	s_ashr_i32 s4, s9, 31
	s_mov_b32 s19, 0
	s_mov_b32 s5, s4
	v_dual_mov_b32 v3, v2 :: v_dual_mov_b32 v13, v10
	s_add_nc_u64 s[6:7], s[8:9], s[4:5]
	v_mov_b32_e32 v11, v10
	s_xor_b64 s[6:7], s[6:7], s[4:5]
	s_delay_alu instid0(VALU_DEP_2) | instskip(SKIP_4) | instid1(SALU_CYCLE_1)
	v_add_nc_u64_e32 v[8:9], v[0:1], v[2:3]
	s_cvt_f32_u32 s2, s6
	s_cvt_f32_u32 s5, s7
	s_sub_nc_u64 s[14:15], 0, s[6:7]
	v_dual_mov_b32 v15, v10 :: v_dual_mov_b32 v21, v10
	s_fmamk_f32 s2, s5, 0x4f800000, s2
	s_delay_alu instid0(VALU_DEP_2) | instskip(SKIP_3) | instid1(TRANS32_DEP_1)
	v_xor_b32_e32 v12, v8, v2
	v_xor_b32_e32 v14, v9, v2
	;; [unrolled: 1-line block ×3, first 2 shown]
	v_s_rcp_f32 s2, s2
	s_mul_f32 s2, s2, 0x5f7ffffc
	s_delay_alu instid0(SALU_CYCLE_3) | instskip(NEXT) | instid1(SALU_CYCLE_3)
	s_mul_f32 s5, s2, 0x2f800000
	s_trunc_f32 s5, s5
	s_delay_alu instid0(SALU_CYCLE_3) | instskip(SKIP_1) | instid1(SALU_CYCLE_2)
	s_fmamk_f32 s2, s5, 0xcf800000, s2
	s_cvt_u32_f32 s13, s5
	s_cvt_u32_f32 s12, s2
	s_delay_alu instid0(SALU_CYCLE_3) | instskip(NEXT) | instid1(SALU_CYCLE_1)
	s_mul_u64 s[16:17], s[14:15], s[12:13]
	s_mul_hi_u32 s21, s12, s17
	s_mul_i32 s20, s12, s17
	s_mul_hi_u32 s18, s12, s16
	s_mul_i32 s5, s13, s16
	s_add_nc_u64 s[20:21], s[18:19], s[20:21]
	s_mul_hi_u32 s2, s13, s16
	s_mul_hi_u32 s9, s13, s17
	s_add_co_u32 s5, s20, s5
	s_add_co_ci_u32 s18, s21, s2
	s_mul_i32 s16, s13, s17
	s_add_co_ci_u32 s17, s9, 0
	s_delay_alu instid0(SALU_CYCLE_1) | instskip(NEXT) | instid1(SALU_CYCLE_1)
	s_add_nc_u64 s[16:17], s[18:19], s[16:17]
	s_add_co_u32 s12, s12, s16
	s_cselect_b32 s2, -1, 0
	s_delay_alu instid0(SALU_CYCLE_1) | instskip(SKIP_1) | instid1(SALU_CYCLE_1)
	s_cmp_lg_u32 s2, 0
	s_add_co_ci_u32 s13, s13, s17
	s_mul_u64 s[14:15], s[14:15], s[12:13]
	s_delay_alu instid0(SALU_CYCLE_1)
	s_mul_hi_u32 s17, s12, s15
	s_mul_i32 s16, s12, s15
	s_mul_hi_u32 s18, s12, s14
	s_mul_i32 s5, s13, s14
	s_add_nc_u64 s[16:17], s[18:19], s[16:17]
	s_mul_hi_u32 s2, s13, s14
	s_mul_hi_u32 s9, s13, s15
	s_add_co_u32 s5, s16, s5
	s_add_co_ci_u32 s18, s17, s2
	s_mul_i32 s14, s13, s15
	s_add_co_ci_u32 s15, s9, 0
	s_delay_alu instid0(SALU_CYCLE_1) | instskip(NEXT) | instid1(SALU_CYCLE_1)
	s_add_nc_u64 s[14:15], s[18:19], s[14:15]
	s_add_co_u32 s2, s12, s14
	s_cselect_b32 s5, -1, 0
	v_nop
	v_mul_hi_u32 v20, v12, s2
	s_cmp_lg_u32 s5, 0
	s_add_co_ci_u32 s18, s13, s15
	s_mov_b64 s[12:13], 0xffffffff
	v_mul_u64_e32 v[16:17], s[18:19], v[12:13]
	s_and_b64 s[12:13], s[2:3], s[12:13]
	v_mul_u64_e32 v[18:19], s[18:19], v[14:15]
	v_mul_u64_e32 v[8:9], s[12:13], v[14:15]
	s_delay_alu instid0(VALU_DEP_3) | instskip(NEXT) | instid1(VALU_DEP_1)
	v_add_nc_u64_e32 v[16:17], v[20:21], v[16:17]
	v_add_co_u32 v3, vcc_lo, v16, v8
	s_delay_alu instid0(VALU_DEP_2) | instskip(SKIP_1) | instid1(VALU_DEP_1)
	v_add_co_ci_u32_e32 v10, vcc_lo, v17, v9, vcc_lo
	v_add_co_ci_u32_e32 v19, vcc_lo, 0, v19, vcc_lo
	v_add_nc_u64_e32 v[8:9], v[10:11], v[18:19]
	s_delay_alu instid0(VALU_DEP_1) | instskip(NEXT) | instid1(VALU_DEP_1)
	v_mul_u64_e32 v[10:11], s[6:7], v[8:9]
	v_sub_co_u32 v7, vcc_lo, v12, v10
	v_add_nc_u64_e32 v[12:13], 1, v[8:9]
	s_delay_alu instid0(VALU_DEP_3) | instskip(SKIP_1) | instid1(VALU_DEP_4)
	v_sub_nc_u32_e32 v3, v14, v11
	v_sub_co_ci_u32_e64 v14, null, v14, v11, vcc_lo
	v_sub_co_u32 v10, s2, v7, s6
	s_delay_alu instid0(VALU_DEP_3) | instskip(NEXT) | instid1(VALU_DEP_2)
	v_subrev_co_ci_u32_e64 v3, null, s7, v3, vcc_lo
	v_cmp_le_u32_e32 vcc_lo, s6, v10
	s_delay_alu instid0(VALU_DEP_2) | instskip(SKIP_1) | instid1(VALU_DEP_2)
	v_subrev_co_ci_u32_e64 v3, null, 0, v3, s2
	v_cndmask_b32_e64 v10, 0, -1, vcc_lo
	v_cmp_le_u32_e32 vcc_lo, s7, v3
	v_cndmask_b32_e64 v11, 0, -1, vcc_lo
	v_cmp_le_u32_e32 vcc_lo, s6, v7
	;; [unrolled: 2-line block ×3, first 2 shown]
	v_cndmask_b32_e64 v15, 0, -1, vcc_lo
	v_cmp_eq_u32_e32 vcc_lo, s7, v3
	v_cndmask_b32_e32 v3, v11, v10, vcc_lo
	v_cmp_eq_u32_e32 vcc_lo, s7, v14
	v_add_nc_u64_e32 v[10:11], 2, v[8:9]
	v_cndmask_b32_e32 v7, v15, v7, vcc_lo
	s_delay_alu instid0(VALU_DEP_4) | instskip(NEXT) | instid1(VALU_DEP_2)
	v_cmp_ne_u32_e32 vcc_lo, 0, v3
	v_cmp_ne_u32_e64 s2, 0, v7
	s_delay_alu instid0(VALU_DEP_4) | instskip(NEXT) | instid1(VALU_DEP_1)
	v_dual_cndmask_b32 v3, v13, v11, vcc_lo :: v_dual_cndmask_b32 v7, v12, v10, vcc_lo
	v_dual_cndmask_b32 v9, v9, v3, s2 :: v_dual_mov_b32 v3, v2
	s_delay_alu instid0(VALU_DEP_1) | instskip(NEXT) | instid1(VALU_DEP_1)
	v_dual_cndmask_b32 v7, v8, v7, s2 :: v_dual_bitop2_b32 v9, v9, v2 bitop3:0x14
	v_xor_b32_e32 v8, v7, v2
	s_delay_alu instid0(VALU_DEP_1)
	v_sub_nc_u64_e32 v[8:9], v[8:9], v[2:3]
.LBB41_11:
	s_and_not1_saveexec_b32 s2, s10
	s_cbranch_execz .LBB41_13
; %bb.12:
	v_cvt_f32_u32_e32 v2, s8
	s_sub_co_i32 s4, 0, s8
	s_delay_alu instid0(VALU_DEP_1) | instskip(SKIP_1) | instid1(TRANS32_DEP_1)
	v_rcp_iflag_f32_e32 v2, v2
	v_nop
	v_mul_f32_e32 v2, 0x4f7ffffe, v2
	s_delay_alu instid0(VALU_DEP_1) | instskip(NEXT) | instid1(VALU_DEP_1)
	v_cvt_u32_f32_e32 v2, v2
	v_mul_lo_u32 v3, s4, v2
	s_delay_alu instid0(VALU_DEP_1) | instskip(NEXT) | instid1(VALU_DEP_1)
	v_mul_hi_u32 v3, v2, v3
	v_add_nc_u32_e32 v2, v2, v3
	s_delay_alu instid0(VALU_DEP_1) | instskip(NEXT) | instid1(VALU_DEP_1)
	v_mul_hi_u32 v2, v0, v2
	v_mul_lo_u32 v3, v2, s8
	s_delay_alu instid0(VALU_DEP_1) | instskip(NEXT) | instid1(VALU_DEP_1)
	v_dual_add_nc_u32 v7, 1, v2 :: v_dual_sub_nc_u32 v3, v0, v3
	v_subrev_nc_u32_e32 v8, s8, v3
	v_cmp_le_u32_e32 vcc_lo, s8, v3
	s_delay_alu instid0(VALU_DEP_2) | instskip(NEXT) | instid1(VALU_DEP_1)
	v_dual_cndmask_b32 v3, v3, v8 :: v_dual_cndmask_b32 v2, v2, v7
	v_cmp_le_u32_e32 vcc_lo, s8, v3
	s_delay_alu instid0(VALU_DEP_2) | instskip(NEXT) | instid1(VALU_DEP_1)
	v_add_nc_u32_e32 v7, 1, v2
	v_cndmask_b32_e32 v8, v2, v7, vcc_lo
.LBB41_13:
	s_or_b32 exec_lo, exec_lo, s2
	s_clause 0x2
	s_load_b128 s[20:23], s[0:1], 0xb0
	s_load_b32 s28, s[0:1], 0xc0
	s_load_b512 s[4:19], s[0:1], 0x18
	s_bfe_u32 s2, ttmp6, 0x40014
	s_bfe_u32 s29, ttmp6, 0x40010
	s_load_b64 s[26:27], s[0:1], 0x0
	s_wait_kmcnt 0x0
	s_lshr_b32 s5, ttmp7, 16
	s_and_b32 s9, ttmp7, 0xffff
	s_add_co_i32 s2, s2, 1
	s_add_co_i32 s29, s29, 1
	s_bfe_u32 s7, ttmp6, 0x40008
	s_bfe_u32 s30, ttmp6, 0x40004
	s_mul_i32 s2, s5, s2
	s_mul_i32 s29, s9, s29
	s_add_co_i32 s7, s7, s2
	s_add_co_i32 s30, s30, s29
	s_cmp_eq_u32 s3, 0
	s_load_b64 s[2:3], s[0:1], 0xa8
	s_cselect_b32 s5, s5, s7
	s_cselect_b32 s7, s9, s30
	v_mul_u64_e32 v[4:5], s[24:25], v[4:5]
	s_add_co_i32 s28, s28, s5
	s_add_co_i32 s4, s20, s4
	s_sub_co_i32 s5, 0, s20
	s_add_co_i32 s4, s4, -1
	s_max_i32 s5, s5, 0
	v_maxmin_i32 v2, s20, v8, s4
	s_max_i32 s4, s20, 0
	s_add_co_i32 s30, s23, s7
	s_sub_co_i32 s4, s5, s4
	s_ashr_i32 s29, s28, 31
	v_add_nc_u32_e32 v7, s4, v2
	s_mul_u64 s[4:5], s[10:11], s[28:29]
	s_ashr_i32 s31, s30, 31
	s_add_nc_u64 s[4:5], s[26:27], s[4:5]
	s_mul_u64 s[10:11], s[12:13], s[30:31]
	s_delay_alu instid0(SALU_CYCLE_1) | instskip(NEXT) | instid1(SALU_CYCLE_1)
	s_add_nc_u64 s[4:5], s[4:5], s[10:11]
	v_mad_nc_u64_u32 v[2:3], s14, v7, s[4:5]
	s_add_co_i32 s5, s21, s6
	s_sub_co_i32 s4, 0, s21
	s_add_co_i32 s5, s5, -1
	s_max_i32 s4, s4, 0
	s_delay_alu instid0(VALU_DEP_1) | instskip(SKIP_3) | instid1(VALU_DEP_3)
	v_mad_u32 v3, s15, v7, v3
	v_ashrrev_i32_e32 v7, 31, v7
	v_sub_nc_u64_e32 v[0:1], v[0:1], v[4:5]
	v_ashrrev_i32_e32 v5, 31, v8
	v_mad_u32 v3, s14, v7, v3
	v_maxmin_i32 v7, s21, v6, s5
	s_max_i32 s5, s21, 0
	s_delay_alu instid0(SALU_CYCLE_1) | instskip(SKIP_1) | instid1(VALU_DEP_1)
	s_sub_co_i32 s4, s4, s5
	s_add_co_i32 s5, s22, s8
	v_add_nc_u32_e32 v7, s4, v7
	s_add_co_i32 s5, s5, -1
	s_sub_co_i32 s4, 0, s22
	s_delay_alu instid0(SALU_CYCLE_1) | instskip(NEXT) | instid1(VALU_DEP_1)
	s_max_i32 s4, s4, 0
	v_mad_nc_u64_u32 v[2:3], s16, v7, v[2:3]
	v_ashrrev_i32_e32 v4, 31, v7
	s_delay_alu instid0(VALU_DEP_2) | instskip(NEXT) | instid1(VALU_DEP_1)
	v_mad_u32 v3, s17, v7, v3
	v_mad_u32 v3, s16, v4, v3
	v_maxmin_i32 v4, s22, v0, s5
	s_max_i32 s5, s22, 0
	s_delay_alu instid0(SALU_CYCLE_1)
	s_sub_co_i32 s4, s4, s5
	s_delay_alu instid0(VALU_DEP_1) | instid1(SALU_CYCLE_1)
	v_add_nc_u32_e32 v4, s4, v4
	s_delay_alu instid0(VALU_DEP_1) | instskip(NEXT) | instid1(VALU_DEP_1)
	v_mad_nc_u64_u32 v[2:3], s18, v4, v[2:3]
	v_mad_u32 v3, s19, v4, v3
	v_ashrrev_i32_e32 v4, 31, v4
	s_delay_alu instid0(VALU_DEP_1)
	v_mad_u32 v3, s18, v4, v3
	global_load_u8 v4, v[2:3], off
	s_clause 0x1
	s_load_b256 s[4:11], s[0:1], 0x88
	s_load_b64 s[12:13], s[0:1], 0x58
	s_wait_kmcnt 0x0
	s_mul_u64 s[0:1], s[4:5], s[28:29]
	s_mul_u64 s[4:5], s[6:7], s[30:31]
	s_add_nc_u64 s[0:1], s[12:13], s[0:1]
	s_delay_alu instid0(SALU_CYCLE_1) | instskip(NEXT) | instid1(SALU_CYCLE_1)
	s_add_nc_u64 s[0:1], s[0:1], s[4:5]
	v_mad_nc_u64_u32 v[2:3], s8, v8, s[0:1]
	s_delay_alu instid0(VALU_DEP_1) | instskip(NEXT) | instid1(VALU_DEP_1)
	v_mad_u32 v3, s9, v8, v3
	v_mad_u32 v3, s8, v5, v3
	v_ashrrev_i32_e32 v5, 31, v6
	s_delay_alu instid0(VALU_DEP_2) | instskip(NEXT) | instid1(VALU_DEP_1)
	v_mad_nc_u64_u32 v[2:3], s10, v6, v[2:3]
	v_mad_u32 v3, s11, v6, v3
	s_delay_alu instid0(VALU_DEP_1) | instskip(NEXT) | instid1(VALU_DEP_1)
	v_mad_u32 v3, s10, v5, v3
	v_mad_nc_u64_u32 v[2:3], s2, v0, v[2:3]
	s_delay_alu instid0(VALU_DEP_1) | instskip(NEXT) | instid1(VALU_DEP_1)
	v_mad_u32 v0, s3, v0, v3
	v_mad_u32 v3, s2, v1, v0
	s_wait_loadcnt 0x0
	global_store_b8 v[2:3], v4, off
.LBB41_14:
	s_endpgm
	.section	.rodata,"a",@progbits
	.p2align	6, 0x0
	.amdhsa_kernel _ZN2at6native12_GLOBAL__N_132replication_pad_forward_kernel3dIaEEvN5torch10headeronly6detail27GenericPackedTensorAccessorINS5_14TensorAccessorIN3c108ArrayRefIlEEKT_Lm4ENS4_16DefaultPtrTraitsElEENS_6detail16IndexBoundsCheckILm5ElEESC_Lm5ESD_lEENS6_INS7_ISA_SB_Lm4ESD_lEESH_SB_Lm5ESD_lEEiiiii
		.amdhsa_group_segment_fixed_size 0
		.amdhsa_private_segment_fixed_size 0
		.amdhsa_kernarg_size 456
		.amdhsa_user_sgpr_count 2
		.amdhsa_user_sgpr_dispatch_ptr 0
		.amdhsa_user_sgpr_queue_ptr 0
		.amdhsa_user_sgpr_kernarg_segment_ptr 1
		.amdhsa_user_sgpr_dispatch_id 0
		.amdhsa_user_sgpr_kernarg_preload_length 0
		.amdhsa_user_sgpr_kernarg_preload_offset 0
		.amdhsa_user_sgpr_private_segment_size 0
		.amdhsa_wavefront_size32 1
		.amdhsa_uses_dynamic_stack 0
		.amdhsa_enable_private_segment 0
		.amdhsa_system_sgpr_workgroup_id_x 1
		.amdhsa_system_sgpr_workgroup_id_y 1
		.amdhsa_system_sgpr_workgroup_id_z 1
		.amdhsa_system_sgpr_workgroup_info 0
		.amdhsa_system_vgpr_workitem_id 0
		.amdhsa_next_free_vgpr 22
		.amdhsa_next_free_sgpr 32
		.amdhsa_named_barrier_count 0
		.amdhsa_reserve_vcc 1
		.amdhsa_float_round_mode_32 0
		.amdhsa_float_round_mode_16_64 0
		.amdhsa_float_denorm_mode_32 3
		.amdhsa_float_denorm_mode_16_64 3
		.amdhsa_fp16_overflow 0
		.amdhsa_memory_ordered 1
		.amdhsa_forward_progress 1
		.amdhsa_inst_pref_size 24
		.amdhsa_round_robin_scheduling 0
		.amdhsa_exception_fp_ieee_invalid_op 0
		.amdhsa_exception_fp_denorm_src 0
		.amdhsa_exception_fp_ieee_div_zero 0
		.amdhsa_exception_fp_ieee_overflow 0
		.amdhsa_exception_fp_ieee_underflow 0
		.amdhsa_exception_fp_ieee_inexact 0
		.amdhsa_exception_int_div_zero 0
	.end_amdhsa_kernel
	.section	.text._ZN2at6native12_GLOBAL__N_132replication_pad_forward_kernel3dIaEEvN5torch10headeronly6detail27GenericPackedTensorAccessorINS5_14TensorAccessorIN3c108ArrayRefIlEEKT_Lm4ENS4_16DefaultPtrTraitsElEENS_6detail16IndexBoundsCheckILm5ElEESC_Lm5ESD_lEENS6_INS7_ISA_SB_Lm4ESD_lEESH_SB_Lm5ESD_lEEiiiii,"axG",@progbits,_ZN2at6native12_GLOBAL__N_132replication_pad_forward_kernel3dIaEEvN5torch10headeronly6detail27GenericPackedTensorAccessorINS5_14TensorAccessorIN3c108ArrayRefIlEEKT_Lm4ENS4_16DefaultPtrTraitsElEENS_6detail16IndexBoundsCheckILm5ElEESC_Lm5ESD_lEENS6_INS7_ISA_SB_Lm4ESD_lEESH_SB_Lm5ESD_lEEiiiii,comdat
.Lfunc_end41:
	.size	_ZN2at6native12_GLOBAL__N_132replication_pad_forward_kernel3dIaEEvN5torch10headeronly6detail27GenericPackedTensorAccessorINS5_14TensorAccessorIN3c108ArrayRefIlEEKT_Lm4ENS4_16DefaultPtrTraitsElEENS_6detail16IndexBoundsCheckILm5ElEESC_Lm5ESD_lEENS6_INS7_ISA_SB_Lm4ESD_lEESH_SB_Lm5ESD_lEEiiiii, .Lfunc_end41-_ZN2at6native12_GLOBAL__N_132replication_pad_forward_kernel3dIaEEvN5torch10headeronly6detail27GenericPackedTensorAccessorINS5_14TensorAccessorIN3c108ArrayRefIlEEKT_Lm4ENS4_16DefaultPtrTraitsElEENS_6detail16IndexBoundsCheckILm5ElEESC_Lm5ESD_lEENS6_INS7_ISA_SB_Lm4ESD_lEESH_SB_Lm5ESD_lEEiiiii
                                        ; -- End function
	.set _ZN2at6native12_GLOBAL__N_132replication_pad_forward_kernel3dIaEEvN5torch10headeronly6detail27GenericPackedTensorAccessorINS5_14TensorAccessorIN3c108ArrayRefIlEEKT_Lm4ENS4_16DefaultPtrTraitsElEENS_6detail16IndexBoundsCheckILm5ElEESC_Lm5ESD_lEENS6_INS7_ISA_SB_Lm4ESD_lEESH_SB_Lm5ESD_lEEiiiii.num_vgpr, 22
	.set _ZN2at6native12_GLOBAL__N_132replication_pad_forward_kernel3dIaEEvN5torch10headeronly6detail27GenericPackedTensorAccessorINS5_14TensorAccessorIN3c108ArrayRefIlEEKT_Lm4ENS4_16DefaultPtrTraitsElEENS_6detail16IndexBoundsCheckILm5ElEESC_Lm5ESD_lEENS6_INS7_ISA_SB_Lm4ESD_lEESH_SB_Lm5ESD_lEEiiiii.num_agpr, 0
	.set _ZN2at6native12_GLOBAL__N_132replication_pad_forward_kernel3dIaEEvN5torch10headeronly6detail27GenericPackedTensorAccessorINS5_14TensorAccessorIN3c108ArrayRefIlEEKT_Lm4ENS4_16DefaultPtrTraitsElEENS_6detail16IndexBoundsCheckILm5ElEESC_Lm5ESD_lEENS6_INS7_ISA_SB_Lm4ESD_lEESH_SB_Lm5ESD_lEEiiiii.numbered_sgpr, 32
	.set _ZN2at6native12_GLOBAL__N_132replication_pad_forward_kernel3dIaEEvN5torch10headeronly6detail27GenericPackedTensorAccessorINS5_14TensorAccessorIN3c108ArrayRefIlEEKT_Lm4ENS4_16DefaultPtrTraitsElEENS_6detail16IndexBoundsCheckILm5ElEESC_Lm5ESD_lEENS6_INS7_ISA_SB_Lm4ESD_lEESH_SB_Lm5ESD_lEEiiiii.num_named_barrier, 0
	.set _ZN2at6native12_GLOBAL__N_132replication_pad_forward_kernel3dIaEEvN5torch10headeronly6detail27GenericPackedTensorAccessorINS5_14TensorAccessorIN3c108ArrayRefIlEEKT_Lm4ENS4_16DefaultPtrTraitsElEENS_6detail16IndexBoundsCheckILm5ElEESC_Lm5ESD_lEENS6_INS7_ISA_SB_Lm4ESD_lEESH_SB_Lm5ESD_lEEiiiii.private_seg_size, 0
	.set _ZN2at6native12_GLOBAL__N_132replication_pad_forward_kernel3dIaEEvN5torch10headeronly6detail27GenericPackedTensorAccessorINS5_14TensorAccessorIN3c108ArrayRefIlEEKT_Lm4ENS4_16DefaultPtrTraitsElEENS_6detail16IndexBoundsCheckILm5ElEESC_Lm5ESD_lEENS6_INS7_ISA_SB_Lm4ESD_lEESH_SB_Lm5ESD_lEEiiiii.uses_vcc, 1
	.set _ZN2at6native12_GLOBAL__N_132replication_pad_forward_kernel3dIaEEvN5torch10headeronly6detail27GenericPackedTensorAccessorINS5_14TensorAccessorIN3c108ArrayRefIlEEKT_Lm4ENS4_16DefaultPtrTraitsElEENS_6detail16IndexBoundsCheckILm5ElEESC_Lm5ESD_lEENS6_INS7_ISA_SB_Lm4ESD_lEESH_SB_Lm5ESD_lEEiiiii.uses_flat_scratch, 0
	.set _ZN2at6native12_GLOBAL__N_132replication_pad_forward_kernel3dIaEEvN5torch10headeronly6detail27GenericPackedTensorAccessorINS5_14TensorAccessorIN3c108ArrayRefIlEEKT_Lm4ENS4_16DefaultPtrTraitsElEENS_6detail16IndexBoundsCheckILm5ElEESC_Lm5ESD_lEENS6_INS7_ISA_SB_Lm4ESD_lEESH_SB_Lm5ESD_lEEiiiii.has_dyn_sized_stack, 0
	.set _ZN2at6native12_GLOBAL__N_132replication_pad_forward_kernel3dIaEEvN5torch10headeronly6detail27GenericPackedTensorAccessorINS5_14TensorAccessorIN3c108ArrayRefIlEEKT_Lm4ENS4_16DefaultPtrTraitsElEENS_6detail16IndexBoundsCheckILm5ElEESC_Lm5ESD_lEENS6_INS7_ISA_SB_Lm4ESD_lEESH_SB_Lm5ESD_lEEiiiii.has_recursion, 0
	.set _ZN2at6native12_GLOBAL__N_132replication_pad_forward_kernel3dIaEEvN5torch10headeronly6detail27GenericPackedTensorAccessorINS5_14TensorAccessorIN3c108ArrayRefIlEEKT_Lm4ENS4_16DefaultPtrTraitsElEENS_6detail16IndexBoundsCheckILm5ElEESC_Lm5ESD_lEENS6_INS7_ISA_SB_Lm4ESD_lEESH_SB_Lm5ESD_lEEiiiii.has_indirect_call, 0
	.section	.AMDGPU.csdata,"",@progbits
; Kernel info:
; codeLenInByte = 2964
; TotalNumSgprs: 34
; NumVgprs: 22
; ScratchSize: 0
; MemoryBound: 0
; FloatMode: 240
; IeeeMode: 1
; LDSByteSize: 0 bytes/workgroup (compile time only)
; SGPRBlocks: 0
; VGPRBlocks: 1
; NumSGPRsForWavesPerEU: 34
; NumVGPRsForWavesPerEU: 22
; NamedBarCnt: 0
; Occupancy: 16
; WaveLimiterHint : 1
; COMPUTE_PGM_RSRC2:SCRATCH_EN: 0
; COMPUTE_PGM_RSRC2:USER_SGPR: 2
; COMPUTE_PGM_RSRC2:TRAP_HANDLER: 0
; COMPUTE_PGM_RSRC2:TGID_X_EN: 1
; COMPUTE_PGM_RSRC2:TGID_Y_EN: 1
; COMPUTE_PGM_RSRC2:TGID_Z_EN: 1
; COMPUTE_PGM_RSRC2:TIDIG_COMP_CNT: 0
	.section	.text._ZN2at6native12_GLOBAL__N_132replication_pad_forward_kernel3dIiEEvN5torch10headeronly6detail27GenericPackedTensorAccessorINS5_14TensorAccessorIN3c108ArrayRefIlEEKT_Lm4ENS4_16DefaultPtrTraitsElEENS_6detail16IndexBoundsCheckILm5ElEESC_Lm5ESD_lEENS6_INS7_ISA_SB_Lm4ESD_lEESH_SB_Lm5ESD_lEEiiiii,"axG",@progbits,_ZN2at6native12_GLOBAL__N_132replication_pad_forward_kernel3dIiEEvN5torch10headeronly6detail27GenericPackedTensorAccessorINS5_14TensorAccessorIN3c108ArrayRefIlEEKT_Lm4ENS4_16DefaultPtrTraitsElEENS_6detail16IndexBoundsCheckILm5ElEESC_Lm5ESD_lEENS6_INS7_ISA_SB_Lm4ESD_lEESH_SB_Lm5ESD_lEEiiiii,comdat
	.globl	_ZN2at6native12_GLOBAL__N_132replication_pad_forward_kernel3dIiEEvN5torch10headeronly6detail27GenericPackedTensorAccessorINS5_14TensorAccessorIN3c108ArrayRefIlEEKT_Lm4ENS4_16DefaultPtrTraitsElEENS_6detail16IndexBoundsCheckILm5ElEESC_Lm5ESD_lEENS6_INS7_ISA_SB_Lm4ESD_lEESH_SB_Lm5ESD_lEEiiiii ; -- Begin function _ZN2at6native12_GLOBAL__N_132replication_pad_forward_kernel3dIiEEvN5torch10headeronly6detail27GenericPackedTensorAccessorINS5_14TensorAccessorIN3c108ArrayRefIlEEKT_Lm4ENS4_16DefaultPtrTraitsElEENS_6detail16IndexBoundsCheckILm5ElEESC_Lm5ESD_lEENS6_INS7_ISA_SB_Lm4ESD_lEESH_SB_Lm5ESD_lEEiiiii
	.p2align	8
	.type	_ZN2at6native12_GLOBAL__N_132replication_pad_forward_kernel3dIiEEvN5torch10headeronly6detail27GenericPackedTensorAccessorINS5_14TensorAccessorIN3c108ArrayRefIlEEKT_Lm4ENS4_16DefaultPtrTraitsElEENS_6detail16IndexBoundsCheckILm5ElEESC_Lm5ESD_lEENS6_INS7_ISA_SB_Lm4ESD_lEESH_SB_Lm5ESD_lEEiiiii,@function
_ZN2at6native12_GLOBAL__N_132replication_pad_forward_kernel3dIiEEvN5torch10headeronly6detail27GenericPackedTensorAccessorINS5_14TensorAccessorIN3c108ArrayRefIlEEKT_Lm4ENS4_16DefaultPtrTraitsElEENS_6detail16IndexBoundsCheckILm5ElEESC_Lm5ESD_lEENS6_INS7_ISA_SB_Lm4ESD_lEESH_SB_Lm5ESD_lEEiiiii: ; @_ZN2at6native12_GLOBAL__N_132replication_pad_forward_kernel3dIiEEvN5torch10headeronly6detail27GenericPackedTensorAccessorINS5_14TensorAccessorIN3c108ArrayRefIlEEKT_Lm4ENS4_16DefaultPtrTraitsElEENS_6detail16IndexBoundsCheckILm5ElEESC_Lm5ESD_lEENS6_INS7_ISA_SB_Lm4ESD_lEESH_SB_Lm5ESD_lEEiiiii
; %bb.0:
	s_load_b32 s2, s[0:1], 0xd4
	s_bfe_u32 s4, ttmp6, 0x4000c
	s_and_b32 s10, ttmp6, 15
	s_add_co_i32 s11, s4, 1
	s_clause 0x1
	s_load_b128 s[4:7], s[0:1], 0x70
	s_load_b64 s[8:9], s[0:1], 0x80
	s_mul_i32 s11, ttmp9, s11
	s_getreg_b32 s3, hwreg(HW_REG_IB_STS2, 6, 4)
	s_add_co_i32 s10, s10, s11
	s_wait_kmcnt 0x0
	s_and_b32 s2, s2, 0xffff
	s_cmp_eq_u32 s3, 0
	s_cselect_b32 s10, ttmp9, s10
	s_delay_alu instid0(SALU_CYCLE_1) | instskip(SKIP_3) | instid1(VALU_DEP_1)
	v_mad_u32 v0, s10, s2, v0
	s_mul_u64 s[10:11], s[8:9], s[6:7]
	s_mov_b32 s2, exec_lo
	s_mul_u64 s[4:5], s[10:11], s[4:5]
	v_ashrrev_i32_e32 v1, 31, v0
	s_delay_alu instid0(VALU_DEP_1)
	v_cmpx_gt_i64_e64 s[4:5], v[0:1]
	s_cbranch_execz .LBB42_14
; %bb.1:
	v_dual_mov_b32 v6, 0 :: v_dual_bitop2_b32 v7, s9, v1 bitop3:0x54
	v_ashrrev_i32_e32 v2, 31, v1
                                        ; implicit-def: $vgpr4_vgpr5
	s_mov_b32 s2, exec_lo
	s_delay_alu instid0(VALU_DEP_2)
	v_cmpx_ne_u64_e32 0, v[6:7]
	s_xor_b32 s14, exec_lo, s2
	s_cbranch_execz .LBB42_3
; %bb.2:
	s_ashr_i32 s4, s9, 31
	s_mov_b32 s23, 0
	s_mov_b32 s5, s4
	v_dual_mov_b32 v3, v2 :: v_dual_mov_b32 v9, v6
	s_add_nc_u64 s[12:13], s[8:9], s[4:5]
	v_mov_b32_e32 v7, v6
	s_xor_b64 s[12:13], s[12:13], s[4:5]
	s_delay_alu instid0(VALU_DEP_2) | instskip(SKIP_4) | instid1(SALU_CYCLE_1)
	v_add_nc_u64_e32 v[4:5], v[0:1], v[2:3]
	s_cvt_f32_u32 s2, s12
	s_cvt_f32_u32 s5, s13
	s_sub_nc_u64 s[18:19], 0, s[12:13]
	v_dual_mov_b32 v11, v6 :: v_dual_mov_b32 v17, v6
	s_fmamk_f32 s2, s5, 0x4f800000, s2
	s_delay_alu instid0(VALU_DEP_2) | instskip(SKIP_1) | instid1(SALU_CYCLE_1)
	v_xor_b32_e32 v8, v4, v2
	v_xor_b32_e32 v10, v5, v2
	v_s_rcp_f32 s2, s2
	s_delay_alu instid0(TRANS32_DEP_1) | instskip(NEXT) | instid1(SALU_CYCLE_3)
	s_mul_f32 s2, s2, 0x5f7ffffc
	s_mul_f32 s5, s2, 0x2f800000
	s_delay_alu instid0(SALU_CYCLE_3) | instskip(NEXT) | instid1(SALU_CYCLE_3)
	s_trunc_f32 s5, s5
	s_fmamk_f32 s2, s5, 0xcf800000, s2
	s_cvt_u32_f32 s17, s5
	s_delay_alu instid0(SALU_CYCLE_2) | instskip(NEXT) | instid1(SALU_CYCLE_3)
	s_cvt_u32_f32 s16, s2
	s_mul_u64 s[20:21], s[18:19], s[16:17]
	s_delay_alu instid0(SALU_CYCLE_1)
	s_mul_hi_u32 s25, s16, s21
	s_mul_i32 s24, s16, s21
	s_mul_hi_u32 s22, s16, s20
	s_mul_i32 s5, s17, s20
	s_add_nc_u64 s[24:25], s[22:23], s[24:25]
	s_mul_hi_u32 s2, s17, s20
	s_mul_hi_u32 s15, s17, s21
	s_add_co_u32 s5, s24, s5
	s_add_co_ci_u32 s22, s25, s2
	s_mul_i32 s20, s17, s21
	s_add_co_ci_u32 s21, s15, 0
	s_delay_alu instid0(SALU_CYCLE_1) | instskip(NEXT) | instid1(SALU_CYCLE_1)
	s_add_nc_u64 s[20:21], s[22:23], s[20:21]
	s_add_co_u32 s16, s16, s20
	s_cselect_b32 s2, -1, 0
	s_delay_alu instid0(SALU_CYCLE_1) | instskip(SKIP_1) | instid1(SALU_CYCLE_1)
	s_cmp_lg_u32 s2, 0
	s_add_co_ci_u32 s17, s17, s21
	s_mul_u64 s[18:19], s[18:19], s[16:17]
	s_delay_alu instid0(SALU_CYCLE_1)
	s_mul_hi_u32 s21, s16, s19
	s_mul_i32 s20, s16, s19
	s_mul_hi_u32 s22, s16, s18
	s_mul_i32 s5, s17, s18
	s_add_nc_u64 s[20:21], s[22:23], s[20:21]
	s_mul_hi_u32 s2, s17, s18
	s_mul_hi_u32 s15, s17, s19
	s_add_co_u32 s5, s20, s5
	s_add_co_ci_u32 s22, s21, s2
	s_mul_i32 s18, s17, s19
	s_add_co_ci_u32 s19, s15, 0
	s_delay_alu instid0(SALU_CYCLE_1) | instskip(NEXT) | instid1(SALU_CYCLE_1)
	s_add_nc_u64 s[18:19], s[22:23], s[18:19]
	s_add_co_u32 s2, s16, s18
	s_cselect_b32 s5, -1, 0
	v_nop
	v_mul_hi_u32 v16, v8, s2
	s_cmp_lg_u32 s5, 0
	s_add_co_ci_u32 s22, s17, s19
	s_mov_b64 s[16:17], 0xffffffff
	v_mul_u64_e32 v[12:13], s[22:23], v[8:9]
	s_and_b64 s[16:17], s[2:3], s[16:17]
	v_mul_u64_e32 v[14:15], s[22:23], v[10:11]
	v_mul_u64_e32 v[4:5], s[16:17], v[10:11]
	s_delay_alu instid0(VALU_DEP_3) | instskip(NEXT) | instid1(VALU_DEP_1)
	v_add_nc_u64_e32 v[12:13], v[16:17], v[12:13]
	v_add_co_u32 v3, vcc_lo, v12, v4
	s_delay_alu instid0(VALU_DEP_2) | instskip(SKIP_1) | instid1(VALU_DEP_1)
	v_add_co_ci_u32_e32 v6, vcc_lo, v13, v5, vcc_lo
	v_add_co_ci_u32_e32 v15, vcc_lo, 0, v15, vcc_lo
	v_add_nc_u64_e32 v[4:5], v[6:7], v[14:15]
	s_delay_alu instid0(VALU_DEP_1) | instskip(NEXT) | instid1(VALU_DEP_1)
	v_mul_u64_e32 v[6:7], s[12:13], v[4:5]
	v_sub_nc_u32_e32 v3, v10, v7
	s_delay_alu instid0(VALU_DEP_2) | instskip(NEXT) | instid1(VALU_DEP_1)
	v_sub_co_u32 v6, vcc_lo, v8, v6
	v_sub_co_ci_u32_e64 v10, null, v10, v7, vcc_lo
	s_delay_alu instid0(VALU_DEP_3) | instskip(NEXT) | instid1(VALU_DEP_3)
	v_subrev_co_ci_u32_e64 v3, null, s13, v3, vcc_lo
	v_sub_co_u32 v8, s2, v6, s12
	s_delay_alu instid0(VALU_DEP_1) | instskip(NEXT) | instid1(VALU_DEP_2)
	v_subrev_co_ci_u32_e64 v3, null, 0, v3, s2
	v_cmp_le_u32_e32 vcc_lo, s12, v8
	v_cndmask_b32_e64 v7, 0, -1, vcc_lo
	s_delay_alu instid0(VALU_DEP_3)
	v_cmp_le_u32_e32 vcc_lo, s13, v3
	v_cndmask_b32_e64 v8, 0, -1, vcc_lo
	v_cmp_le_u32_e32 vcc_lo, s12, v6
	v_cndmask_b32_e64 v11, 0, -1, vcc_lo
	;; [unrolled: 2-line block ×3, first 2 shown]
	v_cmp_eq_u32_e32 vcc_lo, s13, v3
	v_cndmask_b32_e32 v3, v8, v7, vcc_lo
	v_cmp_eq_u32_e32 vcc_lo, s13, v10
	v_add_nc_u64_e32 v[6:7], 2, v[4:5]
	v_add_nc_u64_e32 v[8:9], 1, v[4:5]
	v_cndmask_b32_e32 v10, v12, v11, vcc_lo
	v_cmp_ne_u32_e32 vcc_lo, 0, v3
	s_delay_alu instid0(VALU_DEP_2) | instskip(NEXT) | instid1(VALU_DEP_4)
	v_cmp_ne_u32_e64 s2, 0, v10
	v_dual_cndmask_b32 v3, v9, v7, vcc_lo :: v_dual_cndmask_b32 v7, v8, v6, vcc_lo
	s_delay_alu instid0(VALU_DEP_1) | instskip(NEXT) | instid1(VALU_DEP_1)
	v_dual_cndmask_b32 v4, v4, v7, s2 :: v_dual_bitop2_b32 v6, s4, v2 bitop3:0x14
	v_dual_cndmask_b32 v3, v5, v3, s2 :: v_dual_mov_b32 v7, v6
	s_delay_alu instid0(VALU_DEP_2) | instskip(NEXT) | instid1(VALU_DEP_2)
	v_xor_b32_e32 v4, v4, v6
	v_xor_b32_e32 v5, v3, v6
	s_delay_alu instid0(VALU_DEP_1)
	v_sub_nc_u64_e32 v[4:5], v[4:5], v[6:7]
.LBB42_3:
	s_and_not1_saveexec_b32 s2, s14
	s_cbranch_execz .LBB42_5
; %bb.4:
	v_cvt_f32_u32_e32 v3, s8
	s_sub_co_i32 s4, 0, s8
	s_delay_alu instid0(VALU_DEP_1) | instskip(SKIP_1) | instid1(TRANS32_DEP_1)
	v_rcp_iflag_f32_e32 v3, v3
	v_nop
	v_mul_f32_e32 v3, 0x4f7ffffe, v3
	s_delay_alu instid0(VALU_DEP_1) | instskip(NEXT) | instid1(VALU_DEP_1)
	v_cvt_u32_f32_e32 v3, v3
	v_mul_lo_u32 v4, s4, v3
	s_delay_alu instid0(VALU_DEP_1) | instskip(NEXT) | instid1(VALU_DEP_1)
	v_mul_hi_u32 v4, v3, v4
	v_add_nc_u32_e32 v3, v3, v4
	s_delay_alu instid0(VALU_DEP_1) | instskip(NEXT) | instid1(VALU_DEP_1)
	v_mul_hi_u32 v3, v0, v3
	v_mul_lo_u32 v4, v3, s8
	s_delay_alu instid0(VALU_DEP_1) | instskip(NEXT) | instid1(VALU_DEP_1)
	v_dual_add_nc_u32 v5, 1, v3 :: v_dual_sub_nc_u32 v4, v0, v4
	v_subrev_nc_u32_e32 v6, s8, v4
	v_cmp_le_u32_e32 vcc_lo, s8, v4
	s_delay_alu instid0(VALU_DEP_2) | instskip(NEXT) | instid1(VALU_DEP_1)
	v_dual_cndmask_b32 v4, v4, v6 :: v_dual_cndmask_b32 v3, v3, v5
	v_cmp_le_u32_e32 vcc_lo, s8, v4
	s_delay_alu instid0(VALU_DEP_2) | instskip(NEXT) | instid1(VALU_DEP_1)
	v_add_nc_u32_e32 v5, 1, v3
	v_dual_cndmask_b32 v4, v3, v5 :: v_dual_mov_b32 v5, 0
.LBB42_5:
	s_or_b32 exec_lo, exec_lo, s2
	s_delay_alu instid0(VALU_DEP_1) | instskip(SKIP_1) | instid1(VALU_DEP_1)
	v_dual_mov_b32 v8, 0 :: v_dual_bitop2_b32 v9, s7, v5 bitop3:0x54
                                        ; implicit-def: $vgpr6_vgpr7
	s_mov_b32 s2, exec_lo
	v_cmpx_ne_u64_e32 0, v[8:9]
	s_xor_b32 s12, exec_lo, s2
	s_cbranch_execz .LBB42_7
; %bb.6:
	s_ashr_i32 s4, s7, 31
	s_mov_b32 s21, 0
	s_mov_b32 s5, s4
	v_dual_mov_b32 v13, v8 :: v_dual_ashrrev_i32 v6, 31, v5
	s_add_nc_u64 s[14:15], s[6:7], s[4:5]
	v_mov_b32_e32 v15, v8
	s_xor_b64 s[4:5], s[14:15], s[4:5]
	s_delay_alu instid0(VALU_DEP_2)
	v_mov_b32_e32 v7, v6
	s_cvt_f32_u32 s2, s4
	s_cvt_f32_u32 s7, s5
	s_sub_nc_u64 s[16:17], 0, s[4:5]
	v_mov_b32_e32 v21, v8
	v_add_nc_u64_e32 v[10:11], v[4:5], v[6:7]
	s_fmamk_f32 s2, s7, 0x4f800000, s2
	v_mov_b32_e32 v9, v8
	s_delay_alu instid0(SALU_CYCLE_2) | instskip(NEXT) | instid1(VALU_DEP_2)
	v_s_rcp_f32 s2, s2
	v_xor_b32_e32 v12, v10, v6
	s_delay_alu instid0(VALU_DEP_3) | instskip(NEXT) | instid1(TRANS32_DEP_1)
	v_xor_b32_e32 v14, v11, v6
	s_mul_f32 s2, s2, 0x5f7ffffc
	s_delay_alu instid0(SALU_CYCLE_3) | instskip(NEXT) | instid1(SALU_CYCLE_3)
	s_mul_f32 s7, s2, 0x2f800000
	s_trunc_f32 s7, s7
	s_delay_alu instid0(SALU_CYCLE_3) | instskip(SKIP_1) | instid1(SALU_CYCLE_2)
	s_fmamk_f32 s2, s7, 0xcf800000, s2
	s_cvt_u32_f32 s15, s7
	s_cvt_u32_f32 s14, s2
	s_delay_alu instid0(SALU_CYCLE_3) | instskip(NEXT) | instid1(SALU_CYCLE_1)
	s_mul_u64 s[18:19], s[16:17], s[14:15]
	s_mul_hi_u32 s23, s14, s19
	s_mul_i32 s22, s14, s19
	s_mul_hi_u32 s20, s14, s18
	s_mul_i32 s7, s15, s18
	s_add_nc_u64 s[22:23], s[20:21], s[22:23]
	s_mul_hi_u32 s2, s15, s18
	s_mul_hi_u32 s13, s15, s19
	s_add_co_u32 s7, s22, s7
	s_add_co_ci_u32 s20, s23, s2
	s_mul_i32 s18, s15, s19
	s_add_co_ci_u32 s19, s13, 0
	s_delay_alu instid0(SALU_CYCLE_1) | instskip(NEXT) | instid1(SALU_CYCLE_1)
	s_add_nc_u64 s[18:19], s[20:21], s[18:19]
	s_add_co_u32 s14, s14, s18
	s_cselect_b32 s2, -1, 0
	s_delay_alu instid0(SALU_CYCLE_1) | instskip(SKIP_1) | instid1(SALU_CYCLE_1)
	s_cmp_lg_u32 s2, 0
	s_add_co_ci_u32 s15, s15, s19
	s_mul_u64 s[16:17], s[16:17], s[14:15]
	s_delay_alu instid0(SALU_CYCLE_1)
	s_mul_hi_u32 s19, s14, s17
	s_mul_i32 s18, s14, s17
	s_mul_hi_u32 s20, s14, s16
	s_mul_i32 s7, s15, s16
	s_add_nc_u64 s[18:19], s[20:21], s[18:19]
	s_mul_hi_u32 s2, s15, s16
	s_mul_hi_u32 s13, s15, s17
	s_add_co_u32 s7, s18, s7
	s_add_co_ci_u32 s20, s19, s2
	s_mul_i32 s16, s15, s17
	s_add_co_ci_u32 s17, s13, 0
	s_delay_alu instid0(SALU_CYCLE_1) | instskip(NEXT) | instid1(SALU_CYCLE_1)
	s_add_nc_u64 s[16:17], s[20:21], s[16:17]
	s_add_co_u32 s2, s14, s16
	s_cselect_b32 s7, -1, 0
	v_mul_hi_u32 v20, v12, s2
	s_cmp_lg_u32 s7, 0
	s_add_co_ci_u32 s20, s15, s17
	s_mov_b64 s[14:15], 0xffffffff
	v_mul_u64_e32 v[16:17], s[20:21], v[12:13]
	s_and_b64 s[14:15], s[2:3], s[14:15]
	v_mul_u64_e32 v[18:19], s[20:21], v[14:15]
	v_mul_u64_e32 v[10:11], s[14:15], v[14:15]
	s_delay_alu instid0(VALU_DEP_3) | instskip(NEXT) | instid1(VALU_DEP_1)
	v_add_nc_u64_e32 v[16:17], v[20:21], v[16:17]
	v_add_co_u32 v3, vcc_lo, v16, v10
	s_delay_alu instid0(VALU_DEP_2) | instskip(SKIP_1) | instid1(VALU_DEP_1)
	v_add_co_ci_u32_e32 v8, vcc_lo, v17, v11, vcc_lo
	v_add_co_ci_u32_e32 v19, vcc_lo, 0, v19, vcc_lo
	v_add_nc_u64_e32 v[8:9], v[8:9], v[18:19]
	s_delay_alu instid0(VALU_DEP_1) | instskip(NEXT) | instid1(VALU_DEP_1)
	v_mul_u64_e32 v[8:9], s[4:5], v[8:9]
	v_sub_co_u32 v8, vcc_lo, v12, v8
	s_delay_alu instid0(VALU_DEP_1) | instskip(NEXT) | instid1(VALU_DEP_1)
	v_cmp_le_u32_e64 s2, s4, v8
	v_cndmask_b32_e64 v12, 0, -1, s2
	s_delay_alu instid0(VALU_DEP_4) | instskip(SKIP_1) | instid1(VALU_DEP_2)
	v_sub_nc_u32_e32 v3, v14, v9
	v_sub_co_ci_u32_e64 v9, null, v14, v9, vcc_lo
	v_subrev_co_ci_u32_e64 v3, null, s5, v3, vcc_lo
	v_sub_co_u32 v10, vcc_lo, v8, s4
	s_delay_alu instid0(VALU_DEP_1) | instskip(NEXT) | instid1(VALU_DEP_2)
	v_subrev_co_ci_u32_e64 v11, null, 0, v3, vcc_lo
	v_cmp_le_u32_e64 s2, s4, v10
	v_subrev_co_ci_u32_e64 v3, null, s5, v3, vcc_lo
	v_cmp_le_u32_e32 vcc_lo, s5, v9
	s_delay_alu instid0(VALU_DEP_3) | instskip(SKIP_3) | instid1(VALU_DEP_3)
	v_cndmask_b32_e64 v13, 0, -1, s2
	v_cmp_le_u32_e64 s2, s5, v11
	v_cndmask_b32_e64 v15, 0, -1, vcc_lo
	v_cmp_eq_u32_e32 vcc_lo, s5, v11
	v_cndmask_b32_e64 v14, 0, -1, s2
	v_cmp_eq_u32_e64 s2, s5, v9
	s_delay_alu instid0(VALU_DEP_2) | instskip(SKIP_1) | instid1(VALU_DEP_1)
	v_cndmask_b32_e32 v13, v14, v13, vcc_lo
	v_sub_co_u32 v14, vcc_lo, v10, s4
	v_subrev_co_ci_u32_e64 v3, null, 0, v3, vcc_lo
	s_delay_alu instid0(VALU_DEP_3) | instskip(SKIP_1) | instid1(VALU_DEP_3)
	v_cmp_ne_u32_e32 vcc_lo, 0, v13
	v_cndmask_b32_e64 v12, v15, v12, s2
	v_dual_cndmask_b32 v3, v11, v3 :: v_dual_cndmask_b32 v10, v10, v14
	s_delay_alu instid0(VALU_DEP_2) | instskip(NEXT) | instid1(VALU_DEP_2)
	v_cmp_ne_u32_e32 vcc_lo, 0, v12
	v_dual_cndmask_b32 v3, v9, v3 :: v_dual_cndmask_b32 v8, v8, v10
	s_delay_alu instid0(VALU_DEP_1) | instskip(NEXT) | instid1(VALU_DEP_2)
	v_xor_b32_e32 v9, v3, v6
	v_xor_b32_e32 v8, v8, v6
	s_delay_alu instid0(VALU_DEP_1)
	v_sub_nc_u64_e32 v[6:7], v[8:9], v[6:7]
.LBB42_7:
	s_and_not1_saveexec_b32 s2, s12
	s_cbranch_execz .LBB42_9
; %bb.8:
	v_cvt_f32_u32_e32 v3, s6
	s_sub_co_i32 s4, 0, s6
	s_delay_alu instid0(VALU_DEP_1) | instskip(SKIP_1) | instid1(TRANS32_DEP_1)
	v_rcp_iflag_f32_e32 v3, v3
	v_nop
	v_mul_f32_e32 v3, 0x4f7ffffe, v3
	s_delay_alu instid0(VALU_DEP_1) | instskip(NEXT) | instid1(VALU_DEP_1)
	v_cvt_u32_f32_e32 v3, v3
	v_mul_lo_u32 v6, s4, v3
	s_delay_alu instid0(VALU_DEP_1) | instskip(NEXT) | instid1(VALU_DEP_1)
	v_mul_hi_u32 v6, v3, v6
	v_add_nc_u32_e32 v3, v3, v6
	s_delay_alu instid0(VALU_DEP_1) | instskip(NEXT) | instid1(VALU_DEP_1)
	v_mul_hi_u32 v3, v4, v3
	v_mul_lo_u32 v3, v3, s6
	s_delay_alu instid0(VALU_DEP_1) | instskip(NEXT) | instid1(VALU_DEP_1)
	v_sub_nc_u32_e32 v3, v4, v3
	v_subrev_nc_u32_e32 v6, s6, v3
	v_cmp_le_u32_e32 vcc_lo, s6, v3
	s_delay_alu instid0(VALU_DEP_2) | instskip(NEXT) | instid1(VALU_DEP_1)
	v_cndmask_b32_e32 v3, v3, v6, vcc_lo
	v_subrev_nc_u32_e32 v6, s6, v3
	v_cmp_le_u32_e32 vcc_lo, s6, v3
	s_delay_alu instid0(VALU_DEP_2)
	v_cndmask_b32_e32 v6, v3, v6, vcc_lo
.LBB42_9:
	s_or_b32 exec_lo, exec_lo, s2
	v_dual_mov_b32 v10, 0 :: v_dual_bitop2_b32 v11, s11, v1 bitop3:0x54
                                        ; implicit-def: $vgpr8_vgpr9
	s_mov_b32 s2, exec_lo
	s_delay_alu instid0(VALU_DEP_1)
	v_cmpx_ne_u64_e32 0, v[10:11]
	s_xor_b32 s12, exec_lo, s2
	s_cbranch_execz .LBB42_11
; %bb.10:
	s_ashr_i32 s4, s11, 31
	s_mov_b32 s21, 0
	s_mov_b32 s5, s4
	v_dual_mov_b32 v3, v2 :: v_dual_mov_b32 v13, v10
	s_add_nc_u64 s[6:7], s[10:11], s[4:5]
	v_mov_b32_e32 v11, v10
	s_xor_b64 s[6:7], s[6:7], s[4:5]
	s_delay_alu instid0(VALU_DEP_2) | instskip(SKIP_4) | instid1(SALU_CYCLE_1)
	v_add_nc_u64_e32 v[8:9], v[0:1], v[2:3]
	s_cvt_f32_u32 s2, s6
	s_cvt_f32_u32 s5, s7
	s_sub_nc_u64 s[16:17], 0, s[6:7]
	v_dual_mov_b32 v15, v10 :: v_dual_mov_b32 v21, v10
	s_fmamk_f32 s2, s5, 0x4f800000, s2
	s_delay_alu instid0(VALU_DEP_2) | instskip(SKIP_3) | instid1(TRANS32_DEP_1)
	v_xor_b32_e32 v12, v8, v2
	v_xor_b32_e32 v14, v9, v2
	;; [unrolled: 1-line block ×3, first 2 shown]
	v_s_rcp_f32 s2, s2
	s_mul_f32 s2, s2, 0x5f7ffffc
	s_delay_alu instid0(SALU_CYCLE_3) | instskip(NEXT) | instid1(SALU_CYCLE_3)
	s_mul_f32 s5, s2, 0x2f800000
	s_trunc_f32 s5, s5
	s_delay_alu instid0(SALU_CYCLE_3) | instskip(SKIP_1) | instid1(SALU_CYCLE_2)
	s_fmamk_f32 s2, s5, 0xcf800000, s2
	s_cvt_u32_f32 s15, s5
	s_cvt_u32_f32 s14, s2
	s_delay_alu instid0(SALU_CYCLE_3) | instskip(NEXT) | instid1(SALU_CYCLE_1)
	s_mul_u64 s[18:19], s[16:17], s[14:15]
	s_mul_hi_u32 s23, s14, s19
	s_mul_i32 s22, s14, s19
	s_mul_hi_u32 s20, s14, s18
	s_mul_i32 s5, s15, s18
	s_add_nc_u64 s[22:23], s[20:21], s[22:23]
	s_mul_hi_u32 s2, s15, s18
	s_mul_hi_u32 s11, s15, s19
	s_add_co_u32 s5, s22, s5
	s_add_co_ci_u32 s20, s23, s2
	s_mul_i32 s18, s15, s19
	s_add_co_ci_u32 s19, s11, 0
	s_delay_alu instid0(SALU_CYCLE_1) | instskip(NEXT) | instid1(SALU_CYCLE_1)
	s_add_nc_u64 s[18:19], s[20:21], s[18:19]
	s_add_co_u32 s14, s14, s18
	s_cselect_b32 s2, -1, 0
	s_delay_alu instid0(SALU_CYCLE_1) | instskip(SKIP_1) | instid1(SALU_CYCLE_1)
	s_cmp_lg_u32 s2, 0
	s_add_co_ci_u32 s15, s15, s19
	s_mul_u64 s[16:17], s[16:17], s[14:15]
	s_delay_alu instid0(SALU_CYCLE_1)
	s_mul_hi_u32 s19, s14, s17
	s_mul_i32 s18, s14, s17
	s_mul_hi_u32 s20, s14, s16
	s_mul_i32 s5, s15, s16
	s_add_nc_u64 s[18:19], s[20:21], s[18:19]
	s_mul_hi_u32 s2, s15, s16
	s_mul_hi_u32 s11, s15, s17
	s_add_co_u32 s5, s18, s5
	s_add_co_ci_u32 s20, s19, s2
	s_mul_i32 s16, s15, s17
	s_add_co_ci_u32 s17, s11, 0
	s_delay_alu instid0(SALU_CYCLE_1) | instskip(NEXT) | instid1(SALU_CYCLE_1)
	s_add_nc_u64 s[16:17], s[20:21], s[16:17]
	s_add_co_u32 s2, s14, s16
	s_cselect_b32 s5, -1, 0
	v_nop
	v_mul_hi_u32 v20, v12, s2
	s_cmp_lg_u32 s5, 0
	s_add_co_ci_u32 s20, s15, s17
	s_mov_b64 s[14:15], 0xffffffff
	v_mul_u64_e32 v[16:17], s[20:21], v[12:13]
	s_and_b64 s[14:15], s[2:3], s[14:15]
	v_mul_u64_e32 v[18:19], s[20:21], v[14:15]
	v_mul_u64_e32 v[8:9], s[14:15], v[14:15]
	s_delay_alu instid0(VALU_DEP_3) | instskip(NEXT) | instid1(VALU_DEP_1)
	v_add_nc_u64_e32 v[16:17], v[20:21], v[16:17]
	v_add_co_u32 v3, vcc_lo, v16, v8
	s_delay_alu instid0(VALU_DEP_2) | instskip(SKIP_1) | instid1(VALU_DEP_1)
	v_add_co_ci_u32_e32 v10, vcc_lo, v17, v9, vcc_lo
	v_add_co_ci_u32_e32 v19, vcc_lo, 0, v19, vcc_lo
	v_add_nc_u64_e32 v[8:9], v[10:11], v[18:19]
	s_delay_alu instid0(VALU_DEP_1) | instskip(NEXT) | instid1(VALU_DEP_1)
	v_mul_u64_e32 v[10:11], s[6:7], v[8:9]
	v_sub_co_u32 v7, vcc_lo, v12, v10
	v_add_nc_u64_e32 v[12:13], 1, v[8:9]
	s_delay_alu instid0(VALU_DEP_3) | instskip(SKIP_1) | instid1(VALU_DEP_4)
	v_sub_nc_u32_e32 v3, v14, v11
	v_sub_co_ci_u32_e64 v14, null, v14, v11, vcc_lo
	v_sub_co_u32 v10, s2, v7, s6
	s_delay_alu instid0(VALU_DEP_3) | instskip(NEXT) | instid1(VALU_DEP_2)
	v_subrev_co_ci_u32_e64 v3, null, s7, v3, vcc_lo
	v_cmp_le_u32_e32 vcc_lo, s6, v10
	s_delay_alu instid0(VALU_DEP_2) | instskip(SKIP_1) | instid1(VALU_DEP_2)
	v_subrev_co_ci_u32_e64 v3, null, 0, v3, s2
	v_cndmask_b32_e64 v10, 0, -1, vcc_lo
	v_cmp_le_u32_e32 vcc_lo, s7, v3
	v_cndmask_b32_e64 v11, 0, -1, vcc_lo
	v_cmp_le_u32_e32 vcc_lo, s6, v7
	v_cndmask_b32_e64 v7, 0, -1, vcc_lo
	v_cmp_le_u32_e32 vcc_lo, s7, v14
	v_cndmask_b32_e64 v15, 0, -1, vcc_lo
	v_cmp_eq_u32_e32 vcc_lo, s7, v3
	v_cndmask_b32_e32 v3, v11, v10, vcc_lo
	v_cmp_eq_u32_e32 vcc_lo, s7, v14
	v_add_nc_u64_e32 v[10:11], 2, v[8:9]
	v_cndmask_b32_e32 v7, v15, v7, vcc_lo
	s_delay_alu instid0(VALU_DEP_4) | instskip(NEXT) | instid1(VALU_DEP_2)
	v_cmp_ne_u32_e32 vcc_lo, 0, v3
	v_cmp_ne_u32_e64 s2, 0, v7
	s_delay_alu instid0(VALU_DEP_4) | instskip(NEXT) | instid1(VALU_DEP_1)
	v_dual_cndmask_b32 v3, v13, v11, vcc_lo :: v_dual_cndmask_b32 v7, v12, v10, vcc_lo
	v_dual_cndmask_b32 v9, v9, v3, s2 :: v_dual_mov_b32 v3, v2
	s_delay_alu instid0(VALU_DEP_1) | instskip(NEXT) | instid1(VALU_DEP_1)
	v_dual_cndmask_b32 v7, v8, v7, s2 :: v_dual_bitop2_b32 v9, v9, v2 bitop3:0x14
	v_xor_b32_e32 v8, v7, v2
	s_delay_alu instid0(VALU_DEP_1)
	v_sub_nc_u64_e32 v[8:9], v[8:9], v[2:3]
.LBB42_11:
	s_and_not1_saveexec_b32 s2, s12
	s_cbranch_execz .LBB42_13
; %bb.12:
	v_cvt_f32_u32_e32 v2, s10
	s_sub_co_i32 s4, 0, s10
	s_delay_alu instid0(VALU_DEP_1) | instskip(SKIP_1) | instid1(TRANS32_DEP_1)
	v_rcp_iflag_f32_e32 v2, v2
	v_nop
	v_mul_f32_e32 v2, 0x4f7ffffe, v2
	s_delay_alu instid0(VALU_DEP_1) | instskip(NEXT) | instid1(VALU_DEP_1)
	v_cvt_u32_f32_e32 v2, v2
	v_mul_lo_u32 v3, s4, v2
	s_delay_alu instid0(VALU_DEP_1) | instskip(NEXT) | instid1(VALU_DEP_1)
	v_mul_hi_u32 v3, v2, v3
	v_add_nc_u32_e32 v2, v2, v3
	s_delay_alu instid0(VALU_DEP_1) | instskip(NEXT) | instid1(VALU_DEP_1)
	v_mul_hi_u32 v2, v0, v2
	v_mul_lo_u32 v3, v2, s10
	s_delay_alu instid0(VALU_DEP_1) | instskip(NEXT) | instid1(VALU_DEP_1)
	v_dual_add_nc_u32 v7, 1, v2 :: v_dual_sub_nc_u32 v3, v0, v3
	v_subrev_nc_u32_e32 v8, s10, v3
	v_cmp_le_u32_e32 vcc_lo, s10, v3
	s_delay_alu instid0(VALU_DEP_2) | instskip(NEXT) | instid1(VALU_DEP_1)
	v_dual_cndmask_b32 v3, v3, v8 :: v_dual_cndmask_b32 v2, v2, v7
	v_cmp_le_u32_e32 vcc_lo, s10, v3
	s_delay_alu instid0(VALU_DEP_2) | instskip(NEXT) | instid1(VALU_DEP_1)
	v_add_nc_u32_e32 v7, 1, v2
	v_cndmask_b32_e32 v8, v2, v7, vcc_lo
.LBB42_13:
	s_or_b32 exec_lo, exec_lo, s2
	v_mul_u64_e32 v[2:3], s[8:9], v[4:5]
	s_clause 0x1
	s_load_b128 s[20:23], s[0:1], 0xb0
	s_load_b512 s[4:19], s[0:1], 0x18
	s_bfe_u32 s2, ttmp6, 0x40014
	s_wait_kmcnt 0x0
	s_bfe_u32 s7, ttmp6, 0x40010
	s_lshr_b32 s24, ttmp7, 16
	s_and_b32 s5, ttmp7, 0xffff
	s_add_co_i32 s2, s2, 1
	s_add_co_i32 s7, s7, 1
	s_bfe_u32 s25, ttmp6, 0x40008
	s_bfe_u32 s9, ttmp6, 0x40004
	s_mul_i32 s2, s24, s2
	s_mul_i32 s7, s5, s7
	s_add_co_i32 s25, s25, s2
	s_add_co_i32 s9, s9, s7
	s_cmp_eq_u32 s3, 0
	s_load_b64 s[2:3], s[0:1], 0xa8
	s_cselect_b32 s7, s5, s9
	s_cselect_b32 s9, s24, s25
	v_dual_ashrrev_i32 v9, 31, v8 :: v_dual_ashrrev_i32 v7, 31, v6
	s_sub_co_i32 s25, 0, s20
	s_add_co_i32 s4, s20, s4
	s_sub_co_i32 s24, 0, s21
	s_add_co_i32 s4, s4, -1
	s_max_i32 s28, s20, 0
	v_maxmin_i32 v4, s20, v8, s4
	s_add_co_i32 s6, s21, s6
	s_max_i32 s25, s25, 0
	s_max_i32 s27, s21, 0
	;; [unrolled: 1-line block ×3, first 2 shown]
	s_add_co_i32 s4, s22, s8
	v_sub_nc_u64_e32 v[0:1], v[0:1], v[2:3]
	s_add_co_i32 s6, s6, -1
	s_sub_co_i32 s8, s25, s28
	v_maxmin_i32 v3, s21, v6, s6
	s_sub_co_i32 s6, s24, s27
	v_add_nc_u32_e32 v2, s8, v4
	s_sub_co_i32 s5, 0, s22
	s_max_i32 s26, s22, 0
	s_max_i32 s5, s5, 0
	s_add_co_i32 s4, s4, -1
	v_add_nc_u32_e32 v4, s6, v3
	v_maxmin_i32 v5, s22, v0, s4
	s_sub_co_i32 s4, s5, s26
	v_ashrrev_i32_e32 v3, 31, v2
	s_load_b32 s6, s[0:1], 0xc0
	s_delay_alu instid0(VALU_DEP_2) | instskip(NEXT) | instid1(VALU_DEP_2)
	v_dual_add_nc_u32 v10, s4, v5 :: v_dual_ashrrev_i32 v5, 31, v4
	v_mul_u64_e32 v[2:3], s[14:15], v[2:3]
	s_load_b64 s[4:5], s[0:1], 0x0
	s_wait_kmcnt 0x0
	v_mul_u64_e32 v[0:1], s[2:3], v[0:1]
	v_ashrrev_i32_e32 v11, 31, v10
	v_mul_u64_e32 v[4:5], s[16:17], v[4:5]
	s_add_co_i32 s16, s23, s7
	s_delay_alu instid0(SALU_CYCLE_1) | instskip(NEXT) | instid1(VALU_DEP_2)
	s_ashr_i32 s17, s16, 31
	v_mul_u64_e32 v[10:11], s[18:19], v[10:11]
	s_add_co_i32 s14, s6, s9
	s_mul_u64 s[8:9], s[12:13], s[16:17]
	s_ashr_i32 s15, s14, 31
	s_delay_alu instid0(SALU_CYCLE_1) | instskip(NEXT) | instid1(SALU_CYCLE_1)
	s_mul_u64 s[6:7], s[10:11], s[14:15]
	s_lshl_b64 s[6:7], s[6:7], 2
	s_delay_alu instid0(SALU_CYCLE_1) | instskip(SKIP_1) | instid1(SALU_CYCLE_1)
	s_add_nc_u64 s[4:5], s[4:5], s[6:7]
	s_lshl_b64 s[6:7], s[8:9], 2
	s_add_nc_u64 s[4:5], s[4:5], s[6:7]
	s_delay_alu instid0(SALU_CYCLE_1) | instskip(SKIP_1) | instid1(VALU_DEP_1)
	v_lshl_add_u64 v[2:3], v[2:3], 2, s[4:5]
	s_load_b256 s[4:11], s[0:1], 0x88
	v_lshl_add_u64 v[2:3], v[4:5], 2, v[2:3]
	s_wait_xcnt 0x0
	s_load_b64 s[0:1], s[0:1], 0x58
	s_delay_alu instid0(VALU_DEP_1)
	v_lshl_add_u64 v[2:3], v[10:11], 2, v[2:3]
	global_load_b32 v10, v[2:3], off
	s_wait_kmcnt 0x0
	v_mul_u64_e32 v[2:3], s[8:9], v[8:9]
	v_mul_u64_e32 v[4:5], s[10:11], v[6:7]
	s_mul_u64 s[2:3], s[4:5], s[14:15]
	s_mul_u64 s[4:5], s[6:7], s[16:17]
	s_lshl_b64 s[2:3], s[2:3], 2
	s_delay_alu instid0(SALU_CYCLE_1) | instskip(SKIP_1) | instid1(SALU_CYCLE_1)
	s_add_nc_u64 s[0:1], s[0:1], s[2:3]
	s_lshl_b64 s[2:3], s[4:5], 2
	s_add_nc_u64 s[0:1], s[0:1], s[2:3]
	s_delay_alu instid0(VALU_DEP_2) | instid1(SALU_CYCLE_1)
	v_lshl_add_u64 v[2:3], v[2:3], 2, s[0:1]
	s_delay_alu instid0(VALU_DEP_1) | instskip(NEXT) | instid1(VALU_DEP_1)
	v_lshl_add_u64 v[2:3], v[4:5], 2, v[2:3]
	v_lshl_add_u64 v[0:1], v[0:1], 2, v[2:3]
	s_wait_loadcnt 0x0
	global_store_b32 v[0:1], v10, off
.LBB42_14:
	s_endpgm
	.section	.rodata,"a",@progbits
	.p2align	6, 0x0
	.amdhsa_kernel _ZN2at6native12_GLOBAL__N_132replication_pad_forward_kernel3dIiEEvN5torch10headeronly6detail27GenericPackedTensorAccessorINS5_14TensorAccessorIN3c108ArrayRefIlEEKT_Lm4ENS4_16DefaultPtrTraitsElEENS_6detail16IndexBoundsCheckILm5ElEESC_Lm5ESD_lEENS6_INS7_ISA_SB_Lm4ESD_lEESH_SB_Lm5ESD_lEEiiiii
		.amdhsa_group_segment_fixed_size 0
		.amdhsa_private_segment_fixed_size 0
		.amdhsa_kernarg_size 456
		.amdhsa_user_sgpr_count 2
		.amdhsa_user_sgpr_dispatch_ptr 0
		.amdhsa_user_sgpr_queue_ptr 0
		.amdhsa_user_sgpr_kernarg_segment_ptr 1
		.amdhsa_user_sgpr_dispatch_id 0
		.amdhsa_user_sgpr_kernarg_preload_length 0
		.amdhsa_user_sgpr_kernarg_preload_offset 0
		.amdhsa_user_sgpr_private_segment_size 0
		.amdhsa_wavefront_size32 1
		.amdhsa_uses_dynamic_stack 0
		.amdhsa_enable_private_segment 0
		.amdhsa_system_sgpr_workgroup_id_x 1
		.amdhsa_system_sgpr_workgroup_id_y 1
		.amdhsa_system_sgpr_workgroup_id_z 1
		.amdhsa_system_sgpr_workgroup_info 0
		.amdhsa_system_vgpr_workitem_id 0
		.amdhsa_next_free_vgpr 22
		.amdhsa_next_free_sgpr 29
		.amdhsa_named_barrier_count 0
		.amdhsa_reserve_vcc 1
		.amdhsa_float_round_mode_32 0
		.amdhsa_float_round_mode_16_64 0
		.amdhsa_float_denorm_mode_32 3
		.amdhsa_float_denorm_mode_16_64 3
		.amdhsa_fp16_overflow 0
		.amdhsa_memory_ordered 1
		.amdhsa_forward_progress 1
		.amdhsa_inst_pref_size 23
		.amdhsa_round_robin_scheduling 0
		.amdhsa_exception_fp_ieee_invalid_op 0
		.amdhsa_exception_fp_denorm_src 0
		.amdhsa_exception_fp_ieee_div_zero 0
		.amdhsa_exception_fp_ieee_overflow 0
		.amdhsa_exception_fp_ieee_underflow 0
		.amdhsa_exception_fp_ieee_inexact 0
		.amdhsa_exception_int_div_zero 0
	.end_amdhsa_kernel
	.section	.text._ZN2at6native12_GLOBAL__N_132replication_pad_forward_kernel3dIiEEvN5torch10headeronly6detail27GenericPackedTensorAccessorINS5_14TensorAccessorIN3c108ArrayRefIlEEKT_Lm4ENS4_16DefaultPtrTraitsElEENS_6detail16IndexBoundsCheckILm5ElEESC_Lm5ESD_lEENS6_INS7_ISA_SB_Lm4ESD_lEESH_SB_Lm5ESD_lEEiiiii,"axG",@progbits,_ZN2at6native12_GLOBAL__N_132replication_pad_forward_kernel3dIiEEvN5torch10headeronly6detail27GenericPackedTensorAccessorINS5_14TensorAccessorIN3c108ArrayRefIlEEKT_Lm4ENS4_16DefaultPtrTraitsElEENS_6detail16IndexBoundsCheckILm5ElEESC_Lm5ESD_lEENS6_INS7_ISA_SB_Lm4ESD_lEESH_SB_Lm5ESD_lEEiiiii,comdat
.Lfunc_end42:
	.size	_ZN2at6native12_GLOBAL__N_132replication_pad_forward_kernel3dIiEEvN5torch10headeronly6detail27GenericPackedTensorAccessorINS5_14TensorAccessorIN3c108ArrayRefIlEEKT_Lm4ENS4_16DefaultPtrTraitsElEENS_6detail16IndexBoundsCheckILm5ElEESC_Lm5ESD_lEENS6_INS7_ISA_SB_Lm4ESD_lEESH_SB_Lm5ESD_lEEiiiii, .Lfunc_end42-_ZN2at6native12_GLOBAL__N_132replication_pad_forward_kernel3dIiEEvN5torch10headeronly6detail27GenericPackedTensorAccessorINS5_14TensorAccessorIN3c108ArrayRefIlEEKT_Lm4ENS4_16DefaultPtrTraitsElEENS_6detail16IndexBoundsCheckILm5ElEESC_Lm5ESD_lEENS6_INS7_ISA_SB_Lm4ESD_lEESH_SB_Lm5ESD_lEEiiiii
                                        ; -- End function
	.set _ZN2at6native12_GLOBAL__N_132replication_pad_forward_kernel3dIiEEvN5torch10headeronly6detail27GenericPackedTensorAccessorINS5_14TensorAccessorIN3c108ArrayRefIlEEKT_Lm4ENS4_16DefaultPtrTraitsElEENS_6detail16IndexBoundsCheckILm5ElEESC_Lm5ESD_lEENS6_INS7_ISA_SB_Lm4ESD_lEESH_SB_Lm5ESD_lEEiiiii.num_vgpr, 22
	.set _ZN2at6native12_GLOBAL__N_132replication_pad_forward_kernel3dIiEEvN5torch10headeronly6detail27GenericPackedTensorAccessorINS5_14TensorAccessorIN3c108ArrayRefIlEEKT_Lm4ENS4_16DefaultPtrTraitsElEENS_6detail16IndexBoundsCheckILm5ElEESC_Lm5ESD_lEENS6_INS7_ISA_SB_Lm4ESD_lEESH_SB_Lm5ESD_lEEiiiii.num_agpr, 0
	.set _ZN2at6native12_GLOBAL__N_132replication_pad_forward_kernel3dIiEEvN5torch10headeronly6detail27GenericPackedTensorAccessorINS5_14TensorAccessorIN3c108ArrayRefIlEEKT_Lm4ENS4_16DefaultPtrTraitsElEENS_6detail16IndexBoundsCheckILm5ElEESC_Lm5ESD_lEENS6_INS7_ISA_SB_Lm4ESD_lEESH_SB_Lm5ESD_lEEiiiii.numbered_sgpr, 29
	.set _ZN2at6native12_GLOBAL__N_132replication_pad_forward_kernel3dIiEEvN5torch10headeronly6detail27GenericPackedTensorAccessorINS5_14TensorAccessorIN3c108ArrayRefIlEEKT_Lm4ENS4_16DefaultPtrTraitsElEENS_6detail16IndexBoundsCheckILm5ElEESC_Lm5ESD_lEENS6_INS7_ISA_SB_Lm4ESD_lEESH_SB_Lm5ESD_lEEiiiii.num_named_barrier, 0
	.set _ZN2at6native12_GLOBAL__N_132replication_pad_forward_kernel3dIiEEvN5torch10headeronly6detail27GenericPackedTensorAccessorINS5_14TensorAccessorIN3c108ArrayRefIlEEKT_Lm4ENS4_16DefaultPtrTraitsElEENS_6detail16IndexBoundsCheckILm5ElEESC_Lm5ESD_lEENS6_INS7_ISA_SB_Lm4ESD_lEESH_SB_Lm5ESD_lEEiiiii.private_seg_size, 0
	.set _ZN2at6native12_GLOBAL__N_132replication_pad_forward_kernel3dIiEEvN5torch10headeronly6detail27GenericPackedTensorAccessorINS5_14TensorAccessorIN3c108ArrayRefIlEEKT_Lm4ENS4_16DefaultPtrTraitsElEENS_6detail16IndexBoundsCheckILm5ElEESC_Lm5ESD_lEENS6_INS7_ISA_SB_Lm4ESD_lEESH_SB_Lm5ESD_lEEiiiii.uses_vcc, 1
	.set _ZN2at6native12_GLOBAL__N_132replication_pad_forward_kernel3dIiEEvN5torch10headeronly6detail27GenericPackedTensorAccessorINS5_14TensorAccessorIN3c108ArrayRefIlEEKT_Lm4ENS4_16DefaultPtrTraitsElEENS_6detail16IndexBoundsCheckILm5ElEESC_Lm5ESD_lEENS6_INS7_ISA_SB_Lm4ESD_lEESH_SB_Lm5ESD_lEEiiiii.uses_flat_scratch, 0
	.set _ZN2at6native12_GLOBAL__N_132replication_pad_forward_kernel3dIiEEvN5torch10headeronly6detail27GenericPackedTensorAccessorINS5_14TensorAccessorIN3c108ArrayRefIlEEKT_Lm4ENS4_16DefaultPtrTraitsElEENS_6detail16IndexBoundsCheckILm5ElEESC_Lm5ESD_lEENS6_INS7_ISA_SB_Lm4ESD_lEESH_SB_Lm5ESD_lEEiiiii.has_dyn_sized_stack, 0
	.set _ZN2at6native12_GLOBAL__N_132replication_pad_forward_kernel3dIiEEvN5torch10headeronly6detail27GenericPackedTensorAccessorINS5_14TensorAccessorIN3c108ArrayRefIlEEKT_Lm4ENS4_16DefaultPtrTraitsElEENS_6detail16IndexBoundsCheckILm5ElEESC_Lm5ESD_lEENS6_INS7_ISA_SB_Lm4ESD_lEESH_SB_Lm5ESD_lEEiiiii.has_recursion, 0
	.set _ZN2at6native12_GLOBAL__N_132replication_pad_forward_kernel3dIiEEvN5torch10headeronly6detail27GenericPackedTensorAccessorINS5_14TensorAccessorIN3c108ArrayRefIlEEKT_Lm4ENS4_16DefaultPtrTraitsElEENS_6detail16IndexBoundsCheckILm5ElEESC_Lm5ESD_lEENS6_INS7_ISA_SB_Lm4ESD_lEESH_SB_Lm5ESD_lEEiiiii.has_indirect_call, 0
	.section	.AMDGPU.csdata,"",@progbits
; Kernel info:
; codeLenInByte = 2900
; TotalNumSgprs: 31
; NumVgprs: 22
; ScratchSize: 0
; MemoryBound: 0
; FloatMode: 240
; IeeeMode: 1
; LDSByteSize: 0 bytes/workgroup (compile time only)
; SGPRBlocks: 0
; VGPRBlocks: 1
; NumSGPRsForWavesPerEU: 31
; NumVGPRsForWavesPerEU: 22
; NamedBarCnt: 0
; Occupancy: 16
; WaveLimiterHint : 1
; COMPUTE_PGM_RSRC2:SCRATCH_EN: 0
; COMPUTE_PGM_RSRC2:USER_SGPR: 2
; COMPUTE_PGM_RSRC2:TRAP_HANDLER: 0
; COMPUTE_PGM_RSRC2:TGID_X_EN: 1
; COMPUTE_PGM_RSRC2:TGID_Y_EN: 1
; COMPUTE_PGM_RSRC2:TGID_Z_EN: 1
; COMPUTE_PGM_RSRC2:TIDIG_COMP_CNT: 0
	.section	.text._ZN2at6native12_GLOBAL__N_132replication_pad_forward_kernel3dIlEEvN5torch10headeronly6detail27GenericPackedTensorAccessorINS5_14TensorAccessorIN3c108ArrayRefIlEEKT_Lm4ENS4_16DefaultPtrTraitsElEENS_6detail16IndexBoundsCheckILm5ElEESC_Lm5ESD_lEENS6_INS7_ISA_SB_Lm4ESD_lEESH_SB_Lm5ESD_lEEiiiii,"axG",@progbits,_ZN2at6native12_GLOBAL__N_132replication_pad_forward_kernel3dIlEEvN5torch10headeronly6detail27GenericPackedTensorAccessorINS5_14TensorAccessorIN3c108ArrayRefIlEEKT_Lm4ENS4_16DefaultPtrTraitsElEENS_6detail16IndexBoundsCheckILm5ElEESC_Lm5ESD_lEENS6_INS7_ISA_SB_Lm4ESD_lEESH_SB_Lm5ESD_lEEiiiii,comdat
	.globl	_ZN2at6native12_GLOBAL__N_132replication_pad_forward_kernel3dIlEEvN5torch10headeronly6detail27GenericPackedTensorAccessorINS5_14TensorAccessorIN3c108ArrayRefIlEEKT_Lm4ENS4_16DefaultPtrTraitsElEENS_6detail16IndexBoundsCheckILm5ElEESC_Lm5ESD_lEENS6_INS7_ISA_SB_Lm4ESD_lEESH_SB_Lm5ESD_lEEiiiii ; -- Begin function _ZN2at6native12_GLOBAL__N_132replication_pad_forward_kernel3dIlEEvN5torch10headeronly6detail27GenericPackedTensorAccessorINS5_14TensorAccessorIN3c108ArrayRefIlEEKT_Lm4ENS4_16DefaultPtrTraitsElEENS_6detail16IndexBoundsCheckILm5ElEESC_Lm5ESD_lEENS6_INS7_ISA_SB_Lm4ESD_lEESH_SB_Lm5ESD_lEEiiiii
	.p2align	8
	.type	_ZN2at6native12_GLOBAL__N_132replication_pad_forward_kernel3dIlEEvN5torch10headeronly6detail27GenericPackedTensorAccessorINS5_14TensorAccessorIN3c108ArrayRefIlEEKT_Lm4ENS4_16DefaultPtrTraitsElEENS_6detail16IndexBoundsCheckILm5ElEESC_Lm5ESD_lEENS6_INS7_ISA_SB_Lm4ESD_lEESH_SB_Lm5ESD_lEEiiiii,@function
_ZN2at6native12_GLOBAL__N_132replication_pad_forward_kernel3dIlEEvN5torch10headeronly6detail27GenericPackedTensorAccessorINS5_14TensorAccessorIN3c108ArrayRefIlEEKT_Lm4ENS4_16DefaultPtrTraitsElEENS_6detail16IndexBoundsCheckILm5ElEESC_Lm5ESD_lEENS6_INS7_ISA_SB_Lm4ESD_lEESH_SB_Lm5ESD_lEEiiiii: ; @_ZN2at6native12_GLOBAL__N_132replication_pad_forward_kernel3dIlEEvN5torch10headeronly6detail27GenericPackedTensorAccessorINS5_14TensorAccessorIN3c108ArrayRefIlEEKT_Lm4ENS4_16DefaultPtrTraitsElEENS_6detail16IndexBoundsCheckILm5ElEESC_Lm5ESD_lEENS6_INS7_ISA_SB_Lm4ESD_lEESH_SB_Lm5ESD_lEEiiiii
; %bb.0:
	s_load_b32 s2, s[0:1], 0xd4
	s_bfe_u32 s4, ttmp6, 0x4000c
	s_and_b32 s10, ttmp6, 15
	s_add_co_i32 s11, s4, 1
	s_clause 0x1
	s_load_b128 s[4:7], s[0:1], 0x70
	s_load_b64 s[8:9], s[0:1], 0x80
	s_mul_i32 s11, ttmp9, s11
	s_getreg_b32 s3, hwreg(HW_REG_IB_STS2, 6, 4)
	s_add_co_i32 s10, s10, s11
	s_wait_kmcnt 0x0
	s_and_b32 s2, s2, 0xffff
	s_cmp_eq_u32 s3, 0
	s_cselect_b32 s10, ttmp9, s10
	s_delay_alu instid0(SALU_CYCLE_1) | instskip(SKIP_3) | instid1(VALU_DEP_1)
	v_mad_u32 v0, s10, s2, v0
	s_mul_u64 s[10:11], s[8:9], s[6:7]
	s_mov_b32 s2, exec_lo
	s_mul_u64 s[4:5], s[10:11], s[4:5]
	v_ashrrev_i32_e32 v1, 31, v0
	s_delay_alu instid0(VALU_DEP_1)
	v_cmpx_gt_i64_e64 s[4:5], v[0:1]
	s_cbranch_execz .LBB43_14
; %bb.1:
	v_dual_mov_b32 v6, 0 :: v_dual_bitop2_b32 v7, s9, v1 bitop3:0x54
	v_ashrrev_i32_e32 v2, 31, v1
                                        ; implicit-def: $vgpr4_vgpr5
	s_mov_b32 s2, exec_lo
	s_delay_alu instid0(VALU_DEP_2)
	v_cmpx_ne_u64_e32 0, v[6:7]
	s_xor_b32 s14, exec_lo, s2
	s_cbranch_execz .LBB43_3
; %bb.2:
	s_ashr_i32 s4, s9, 31
	s_mov_b32 s23, 0
	s_mov_b32 s5, s4
	v_dual_mov_b32 v3, v2 :: v_dual_mov_b32 v9, v6
	s_add_nc_u64 s[12:13], s[8:9], s[4:5]
	v_mov_b32_e32 v7, v6
	s_xor_b64 s[12:13], s[12:13], s[4:5]
	s_delay_alu instid0(VALU_DEP_2) | instskip(SKIP_4) | instid1(SALU_CYCLE_1)
	v_add_nc_u64_e32 v[4:5], v[0:1], v[2:3]
	s_cvt_f32_u32 s2, s12
	s_cvt_f32_u32 s5, s13
	s_sub_nc_u64 s[18:19], 0, s[12:13]
	v_dual_mov_b32 v11, v6 :: v_dual_mov_b32 v17, v6
	s_fmamk_f32 s2, s5, 0x4f800000, s2
	s_delay_alu instid0(VALU_DEP_2) | instskip(SKIP_1) | instid1(SALU_CYCLE_1)
	v_xor_b32_e32 v8, v4, v2
	v_xor_b32_e32 v10, v5, v2
	v_s_rcp_f32 s2, s2
	s_delay_alu instid0(TRANS32_DEP_1) | instskip(NEXT) | instid1(SALU_CYCLE_3)
	s_mul_f32 s2, s2, 0x5f7ffffc
	s_mul_f32 s5, s2, 0x2f800000
	s_delay_alu instid0(SALU_CYCLE_3) | instskip(NEXT) | instid1(SALU_CYCLE_3)
	s_trunc_f32 s5, s5
	s_fmamk_f32 s2, s5, 0xcf800000, s2
	s_cvt_u32_f32 s17, s5
	s_delay_alu instid0(SALU_CYCLE_2) | instskip(NEXT) | instid1(SALU_CYCLE_3)
	s_cvt_u32_f32 s16, s2
	s_mul_u64 s[20:21], s[18:19], s[16:17]
	s_delay_alu instid0(SALU_CYCLE_1)
	s_mul_hi_u32 s25, s16, s21
	s_mul_i32 s24, s16, s21
	s_mul_hi_u32 s22, s16, s20
	s_mul_i32 s5, s17, s20
	s_add_nc_u64 s[24:25], s[22:23], s[24:25]
	s_mul_hi_u32 s2, s17, s20
	s_mul_hi_u32 s15, s17, s21
	s_add_co_u32 s5, s24, s5
	s_add_co_ci_u32 s22, s25, s2
	s_mul_i32 s20, s17, s21
	s_add_co_ci_u32 s21, s15, 0
	s_delay_alu instid0(SALU_CYCLE_1) | instskip(NEXT) | instid1(SALU_CYCLE_1)
	s_add_nc_u64 s[20:21], s[22:23], s[20:21]
	s_add_co_u32 s16, s16, s20
	s_cselect_b32 s2, -1, 0
	s_delay_alu instid0(SALU_CYCLE_1) | instskip(SKIP_1) | instid1(SALU_CYCLE_1)
	s_cmp_lg_u32 s2, 0
	s_add_co_ci_u32 s17, s17, s21
	s_mul_u64 s[18:19], s[18:19], s[16:17]
	s_delay_alu instid0(SALU_CYCLE_1)
	s_mul_hi_u32 s21, s16, s19
	s_mul_i32 s20, s16, s19
	s_mul_hi_u32 s22, s16, s18
	s_mul_i32 s5, s17, s18
	s_add_nc_u64 s[20:21], s[22:23], s[20:21]
	s_mul_hi_u32 s2, s17, s18
	s_mul_hi_u32 s15, s17, s19
	s_add_co_u32 s5, s20, s5
	s_add_co_ci_u32 s22, s21, s2
	s_mul_i32 s18, s17, s19
	s_add_co_ci_u32 s19, s15, 0
	s_delay_alu instid0(SALU_CYCLE_1) | instskip(NEXT) | instid1(SALU_CYCLE_1)
	s_add_nc_u64 s[18:19], s[22:23], s[18:19]
	s_add_co_u32 s2, s16, s18
	s_cselect_b32 s5, -1, 0
	v_nop
	v_mul_hi_u32 v16, v8, s2
	s_cmp_lg_u32 s5, 0
	s_add_co_ci_u32 s22, s17, s19
	s_mov_b64 s[16:17], 0xffffffff
	v_mul_u64_e32 v[12:13], s[22:23], v[8:9]
	s_and_b64 s[16:17], s[2:3], s[16:17]
	v_mul_u64_e32 v[14:15], s[22:23], v[10:11]
	v_mul_u64_e32 v[4:5], s[16:17], v[10:11]
	s_delay_alu instid0(VALU_DEP_3) | instskip(NEXT) | instid1(VALU_DEP_1)
	v_add_nc_u64_e32 v[12:13], v[16:17], v[12:13]
	v_add_co_u32 v3, vcc_lo, v12, v4
	s_delay_alu instid0(VALU_DEP_2) | instskip(SKIP_1) | instid1(VALU_DEP_1)
	v_add_co_ci_u32_e32 v6, vcc_lo, v13, v5, vcc_lo
	v_add_co_ci_u32_e32 v15, vcc_lo, 0, v15, vcc_lo
	v_add_nc_u64_e32 v[4:5], v[6:7], v[14:15]
	s_delay_alu instid0(VALU_DEP_1) | instskip(NEXT) | instid1(VALU_DEP_1)
	v_mul_u64_e32 v[6:7], s[12:13], v[4:5]
	v_sub_nc_u32_e32 v3, v10, v7
	s_delay_alu instid0(VALU_DEP_2) | instskip(NEXT) | instid1(VALU_DEP_1)
	v_sub_co_u32 v6, vcc_lo, v8, v6
	v_sub_co_ci_u32_e64 v10, null, v10, v7, vcc_lo
	s_delay_alu instid0(VALU_DEP_3) | instskip(NEXT) | instid1(VALU_DEP_3)
	v_subrev_co_ci_u32_e64 v3, null, s13, v3, vcc_lo
	v_sub_co_u32 v8, s2, v6, s12
	s_delay_alu instid0(VALU_DEP_1) | instskip(NEXT) | instid1(VALU_DEP_2)
	v_subrev_co_ci_u32_e64 v3, null, 0, v3, s2
	v_cmp_le_u32_e32 vcc_lo, s12, v8
	v_cndmask_b32_e64 v7, 0, -1, vcc_lo
	s_delay_alu instid0(VALU_DEP_3)
	v_cmp_le_u32_e32 vcc_lo, s13, v3
	v_cndmask_b32_e64 v8, 0, -1, vcc_lo
	v_cmp_le_u32_e32 vcc_lo, s12, v6
	v_cndmask_b32_e64 v11, 0, -1, vcc_lo
	;; [unrolled: 2-line block ×3, first 2 shown]
	v_cmp_eq_u32_e32 vcc_lo, s13, v3
	v_cndmask_b32_e32 v3, v8, v7, vcc_lo
	v_cmp_eq_u32_e32 vcc_lo, s13, v10
	v_add_nc_u64_e32 v[6:7], 2, v[4:5]
	v_add_nc_u64_e32 v[8:9], 1, v[4:5]
	v_cndmask_b32_e32 v10, v12, v11, vcc_lo
	v_cmp_ne_u32_e32 vcc_lo, 0, v3
	s_delay_alu instid0(VALU_DEP_2) | instskip(NEXT) | instid1(VALU_DEP_4)
	v_cmp_ne_u32_e64 s2, 0, v10
	v_dual_cndmask_b32 v3, v9, v7, vcc_lo :: v_dual_cndmask_b32 v7, v8, v6, vcc_lo
	s_delay_alu instid0(VALU_DEP_1) | instskip(NEXT) | instid1(VALU_DEP_1)
	v_dual_cndmask_b32 v4, v4, v7, s2 :: v_dual_bitop2_b32 v6, s4, v2 bitop3:0x14
	v_dual_cndmask_b32 v3, v5, v3, s2 :: v_dual_mov_b32 v7, v6
	s_delay_alu instid0(VALU_DEP_2) | instskip(NEXT) | instid1(VALU_DEP_2)
	v_xor_b32_e32 v4, v4, v6
	v_xor_b32_e32 v5, v3, v6
	s_delay_alu instid0(VALU_DEP_1)
	v_sub_nc_u64_e32 v[4:5], v[4:5], v[6:7]
.LBB43_3:
	s_and_not1_saveexec_b32 s2, s14
	s_cbranch_execz .LBB43_5
; %bb.4:
	v_cvt_f32_u32_e32 v3, s8
	s_sub_co_i32 s4, 0, s8
	s_delay_alu instid0(VALU_DEP_1) | instskip(SKIP_1) | instid1(TRANS32_DEP_1)
	v_rcp_iflag_f32_e32 v3, v3
	v_nop
	v_mul_f32_e32 v3, 0x4f7ffffe, v3
	s_delay_alu instid0(VALU_DEP_1) | instskip(NEXT) | instid1(VALU_DEP_1)
	v_cvt_u32_f32_e32 v3, v3
	v_mul_lo_u32 v4, s4, v3
	s_delay_alu instid0(VALU_DEP_1) | instskip(NEXT) | instid1(VALU_DEP_1)
	v_mul_hi_u32 v4, v3, v4
	v_add_nc_u32_e32 v3, v3, v4
	s_delay_alu instid0(VALU_DEP_1) | instskip(NEXT) | instid1(VALU_DEP_1)
	v_mul_hi_u32 v3, v0, v3
	v_mul_lo_u32 v4, v3, s8
	s_delay_alu instid0(VALU_DEP_1) | instskip(NEXT) | instid1(VALU_DEP_1)
	v_dual_add_nc_u32 v5, 1, v3 :: v_dual_sub_nc_u32 v4, v0, v4
	v_subrev_nc_u32_e32 v6, s8, v4
	v_cmp_le_u32_e32 vcc_lo, s8, v4
	s_delay_alu instid0(VALU_DEP_2) | instskip(NEXT) | instid1(VALU_DEP_1)
	v_dual_cndmask_b32 v4, v4, v6 :: v_dual_cndmask_b32 v3, v3, v5
	v_cmp_le_u32_e32 vcc_lo, s8, v4
	s_delay_alu instid0(VALU_DEP_2) | instskip(NEXT) | instid1(VALU_DEP_1)
	v_add_nc_u32_e32 v5, 1, v3
	v_dual_cndmask_b32 v4, v3, v5 :: v_dual_mov_b32 v5, 0
.LBB43_5:
	s_or_b32 exec_lo, exec_lo, s2
	s_delay_alu instid0(VALU_DEP_1) | instskip(SKIP_1) | instid1(VALU_DEP_1)
	v_dual_mov_b32 v8, 0 :: v_dual_bitop2_b32 v9, s7, v5 bitop3:0x54
                                        ; implicit-def: $vgpr6_vgpr7
	s_mov_b32 s2, exec_lo
	v_cmpx_ne_u64_e32 0, v[8:9]
	s_xor_b32 s12, exec_lo, s2
	s_cbranch_execz .LBB43_7
; %bb.6:
	s_ashr_i32 s4, s7, 31
	s_mov_b32 s21, 0
	s_mov_b32 s5, s4
	v_dual_mov_b32 v13, v8 :: v_dual_ashrrev_i32 v6, 31, v5
	s_add_nc_u64 s[14:15], s[6:7], s[4:5]
	v_mov_b32_e32 v15, v8
	s_xor_b64 s[4:5], s[14:15], s[4:5]
	s_delay_alu instid0(VALU_DEP_2)
	v_mov_b32_e32 v7, v6
	s_cvt_f32_u32 s2, s4
	s_cvt_f32_u32 s7, s5
	s_sub_nc_u64 s[16:17], 0, s[4:5]
	v_mov_b32_e32 v21, v8
	v_add_nc_u64_e32 v[10:11], v[4:5], v[6:7]
	s_fmamk_f32 s2, s7, 0x4f800000, s2
	v_mov_b32_e32 v9, v8
	s_delay_alu instid0(SALU_CYCLE_2) | instskip(NEXT) | instid1(VALU_DEP_2)
	v_s_rcp_f32 s2, s2
	v_xor_b32_e32 v12, v10, v6
	s_delay_alu instid0(VALU_DEP_3) | instskip(NEXT) | instid1(TRANS32_DEP_1)
	v_xor_b32_e32 v14, v11, v6
	s_mul_f32 s2, s2, 0x5f7ffffc
	s_delay_alu instid0(SALU_CYCLE_3) | instskip(NEXT) | instid1(SALU_CYCLE_3)
	s_mul_f32 s7, s2, 0x2f800000
	s_trunc_f32 s7, s7
	s_delay_alu instid0(SALU_CYCLE_3) | instskip(SKIP_1) | instid1(SALU_CYCLE_2)
	s_fmamk_f32 s2, s7, 0xcf800000, s2
	s_cvt_u32_f32 s15, s7
	s_cvt_u32_f32 s14, s2
	s_delay_alu instid0(SALU_CYCLE_3) | instskip(NEXT) | instid1(SALU_CYCLE_1)
	s_mul_u64 s[18:19], s[16:17], s[14:15]
	s_mul_hi_u32 s23, s14, s19
	s_mul_i32 s22, s14, s19
	s_mul_hi_u32 s20, s14, s18
	s_mul_i32 s7, s15, s18
	s_add_nc_u64 s[22:23], s[20:21], s[22:23]
	s_mul_hi_u32 s2, s15, s18
	s_mul_hi_u32 s13, s15, s19
	s_add_co_u32 s7, s22, s7
	s_add_co_ci_u32 s20, s23, s2
	s_mul_i32 s18, s15, s19
	s_add_co_ci_u32 s19, s13, 0
	s_delay_alu instid0(SALU_CYCLE_1) | instskip(NEXT) | instid1(SALU_CYCLE_1)
	s_add_nc_u64 s[18:19], s[20:21], s[18:19]
	s_add_co_u32 s14, s14, s18
	s_cselect_b32 s2, -1, 0
	s_delay_alu instid0(SALU_CYCLE_1) | instskip(SKIP_1) | instid1(SALU_CYCLE_1)
	s_cmp_lg_u32 s2, 0
	s_add_co_ci_u32 s15, s15, s19
	s_mul_u64 s[16:17], s[16:17], s[14:15]
	s_delay_alu instid0(SALU_CYCLE_1)
	s_mul_hi_u32 s19, s14, s17
	s_mul_i32 s18, s14, s17
	s_mul_hi_u32 s20, s14, s16
	s_mul_i32 s7, s15, s16
	s_add_nc_u64 s[18:19], s[20:21], s[18:19]
	s_mul_hi_u32 s2, s15, s16
	s_mul_hi_u32 s13, s15, s17
	s_add_co_u32 s7, s18, s7
	s_add_co_ci_u32 s20, s19, s2
	s_mul_i32 s16, s15, s17
	s_add_co_ci_u32 s17, s13, 0
	s_delay_alu instid0(SALU_CYCLE_1) | instskip(NEXT) | instid1(SALU_CYCLE_1)
	s_add_nc_u64 s[16:17], s[20:21], s[16:17]
	s_add_co_u32 s2, s14, s16
	s_cselect_b32 s7, -1, 0
	v_mul_hi_u32 v20, v12, s2
	s_cmp_lg_u32 s7, 0
	s_add_co_ci_u32 s20, s15, s17
	s_mov_b64 s[14:15], 0xffffffff
	v_mul_u64_e32 v[16:17], s[20:21], v[12:13]
	s_and_b64 s[14:15], s[2:3], s[14:15]
	v_mul_u64_e32 v[18:19], s[20:21], v[14:15]
	v_mul_u64_e32 v[10:11], s[14:15], v[14:15]
	s_delay_alu instid0(VALU_DEP_3) | instskip(NEXT) | instid1(VALU_DEP_1)
	v_add_nc_u64_e32 v[16:17], v[20:21], v[16:17]
	v_add_co_u32 v3, vcc_lo, v16, v10
	s_delay_alu instid0(VALU_DEP_2) | instskip(SKIP_1) | instid1(VALU_DEP_1)
	v_add_co_ci_u32_e32 v8, vcc_lo, v17, v11, vcc_lo
	v_add_co_ci_u32_e32 v19, vcc_lo, 0, v19, vcc_lo
	v_add_nc_u64_e32 v[8:9], v[8:9], v[18:19]
	s_delay_alu instid0(VALU_DEP_1) | instskip(NEXT) | instid1(VALU_DEP_1)
	v_mul_u64_e32 v[8:9], s[4:5], v[8:9]
	v_sub_co_u32 v8, vcc_lo, v12, v8
	s_delay_alu instid0(VALU_DEP_1) | instskip(NEXT) | instid1(VALU_DEP_1)
	v_cmp_le_u32_e64 s2, s4, v8
	v_cndmask_b32_e64 v12, 0, -1, s2
	s_delay_alu instid0(VALU_DEP_4) | instskip(SKIP_1) | instid1(VALU_DEP_2)
	v_sub_nc_u32_e32 v3, v14, v9
	v_sub_co_ci_u32_e64 v9, null, v14, v9, vcc_lo
	v_subrev_co_ci_u32_e64 v3, null, s5, v3, vcc_lo
	v_sub_co_u32 v10, vcc_lo, v8, s4
	s_delay_alu instid0(VALU_DEP_1) | instskip(NEXT) | instid1(VALU_DEP_2)
	v_subrev_co_ci_u32_e64 v11, null, 0, v3, vcc_lo
	v_cmp_le_u32_e64 s2, s4, v10
	v_subrev_co_ci_u32_e64 v3, null, s5, v3, vcc_lo
	v_cmp_le_u32_e32 vcc_lo, s5, v9
	s_delay_alu instid0(VALU_DEP_3) | instskip(SKIP_3) | instid1(VALU_DEP_3)
	v_cndmask_b32_e64 v13, 0, -1, s2
	v_cmp_le_u32_e64 s2, s5, v11
	v_cndmask_b32_e64 v15, 0, -1, vcc_lo
	v_cmp_eq_u32_e32 vcc_lo, s5, v11
	v_cndmask_b32_e64 v14, 0, -1, s2
	v_cmp_eq_u32_e64 s2, s5, v9
	s_delay_alu instid0(VALU_DEP_2) | instskip(SKIP_1) | instid1(VALU_DEP_1)
	v_cndmask_b32_e32 v13, v14, v13, vcc_lo
	v_sub_co_u32 v14, vcc_lo, v10, s4
	v_subrev_co_ci_u32_e64 v3, null, 0, v3, vcc_lo
	s_delay_alu instid0(VALU_DEP_3) | instskip(SKIP_1) | instid1(VALU_DEP_3)
	v_cmp_ne_u32_e32 vcc_lo, 0, v13
	v_cndmask_b32_e64 v12, v15, v12, s2
	v_dual_cndmask_b32 v3, v11, v3 :: v_dual_cndmask_b32 v10, v10, v14
	s_delay_alu instid0(VALU_DEP_2) | instskip(NEXT) | instid1(VALU_DEP_2)
	v_cmp_ne_u32_e32 vcc_lo, 0, v12
	v_dual_cndmask_b32 v3, v9, v3 :: v_dual_cndmask_b32 v8, v8, v10
	s_delay_alu instid0(VALU_DEP_1) | instskip(NEXT) | instid1(VALU_DEP_2)
	v_xor_b32_e32 v9, v3, v6
	v_xor_b32_e32 v8, v8, v6
	s_delay_alu instid0(VALU_DEP_1)
	v_sub_nc_u64_e32 v[6:7], v[8:9], v[6:7]
.LBB43_7:
	s_and_not1_saveexec_b32 s2, s12
	s_cbranch_execz .LBB43_9
; %bb.8:
	v_cvt_f32_u32_e32 v3, s6
	s_sub_co_i32 s4, 0, s6
	s_delay_alu instid0(VALU_DEP_1) | instskip(SKIP_1) | instid1(TRANS32_DEP_1)
	v_rcp_iflag_f32_e32 v3, v3
	v_nop
	v_mul_f32_e32 v3, 0x4f7ffffe, v3
	s_delay_alu instid0(VALU_DEP_1) | instskip(NEXT) | instid1(VALU_DEP_1)
	v_cvt_u32_f32_e32 v3, v3
	v_mul_lo_u32 v6, s4, v3
	s_delay_alu instid0(VALU_DEP_1) | instskip(NEXT) | instid1(VALU_DEP_1)
	v_mul_hi_u32 v6, v3, v6
	v_add_nc_u32_e32 v3, v3, v6
	s_delay_alu instid0(VALU_DEP_1) | instskip(NEXT) | instid1(VALU_DEP_1)
	v_mul_hi_u32 v3, v4, v3
	v_mul_lo_u32 v3, v3, s6
	s_delay_alu instid0(VALU_DEP_1) | instskip(NEXT) | instid1(VALU_DEP_1)
	v_sub_nc_u32_e32 v3, v4, v3
	v_subrev_nc_u32_e32 v6, s6, v3
	v_cmp_le_u32_e32 vcc_lo, s6, v3
	s_delay_alu instid0(VALU_DEP_2) | instskip(NEXT) | instid1(VALU_DEP_1)
	v_cndmask_b32_e32 v3, v3, v6, vcc_lo
	v_subrev_nc_u32_e32 v6, s6, v3
	v_cmp_le_u32_e32 vcc_lo, s6, v3
	s_delay_alu instid0(VALU_DEP_2)
	v_cndmask_b32_e32 v6, v3, v6, vcc_lo
.LBB43_9:
	s_or_b32 exec_lo, exec_lo, s2
	v_dual_mov_b32 v10, 0 :: v_dual_bitop2_b32 v11, s11, v1 bitop3:0x54
                                        ; implicit-def: $vgpr8_vgpr9
	s_mov_b32 s2, exec_lo
	s_delay_alu instid0(VALU_DEP_1)
	v_cmpx_ne_u64_e32 0, v[10:11]
	s_xor_b32 s12, exec_lo, s2
	s_cbranch_execz .LBB43_11
; %bb.10:
	s_ashr_i32 s4, s11, 31
	s_mov_b32 s21, 0
	s_mov_b32 s5, s4
	v_dual_mov_b32 v3, v2 :: v_dual_mov_b32 v13, v10
	s_add_nc_u64 s[6:7], s[10:11], s[4:5]
	v_mov_b32_e32 v11, v10
	s_xor_b64 s[6:7], s[6:7], s[4:5]
	s_delay_alu instid0(VALU_DEP_2) | instskip(SKIP_4) | instid1(SALU_CYCLE_1)
	v_add_nc_u64_e32 v[8:9], v[0:1], v[2:3]
	s_cvt_f32_u32 s2, s6
	s_cvt_f32_u32 s5, s7
	s_sub_nc_u64 s[16:17], 0, s[6:7]
	v_dual_mov_b32 v15, v10 :: v_dual_mov_b32 v21, v10
	s_fmamk_f32 s2, s5, 0x4f800000, s2
	s_delay_alu instid0(VALU_DEP_2) | instskip(SKIP_3) | instid1(TRANS32_DEP_1)
	v_xor_b32_e32 v12, v8, v2
	v_xor_b32_e32 v14, v9, v2
	;; [unrolled: 1-line block ×3, first 2 shown]
	v_s_rcp_f32 s2, s2
	s_mul_f32 s2, s2, 0x5f7ffffc
	s_delay_alu instid0(SALU_CYCLE_3) | instskip(NEXT) | instid1(SALU_CYCLE_3)
	s_mul_f32 s5, s2, 0x2f800000
	s_trunc_f32 s5, s5
	s_delay_alu instid0(SALU_CYCLE_3) | instskip(SKIP_1) | instid1(SALU_CYCLE_2)
	s_fmamk_f32 s2, s5, 0xcf800000, s2
	s_cvt_u32_f32 s15, s5
	s_cvt_u32_f32 s14, s2
	s_delay_alu instid0(SALU_CYCLE_3) | instskip(NEXT) | instid1(SALU_CYCLE_1)
	s_mul_u64 s[18:19], s[16:17], s[14:15]
	s_mul_hi_u32 s23, s14, s19
	s_mul_i32 s22, s14, s19
	s_mul_hi_u32 s20, s14, s18
	s_mul_i32 s5, s15, s18
	s_add_nc_u64 s[22:23], s[20:21], s[22:23]
	s_mul_hi_u32 s2, s15, s18
	s_mul_hi_u32 s11, s15, s19
	s_add_co_u32 s5, s22, s5
	s_add_co_ci_u32 s20, s23, s2
	s_mul_i32 s18, s15, s19
	s_add_co_ci_u32 s19, s11, 0
	s_delay_alu instid0(SALU_CYCLE_1) | instskip(NEXT) | instid1(SALU_CYCLE_1)
	s_add_nc_u64 s[18:19], s[20:21], s[18:19]
	s_add_co_u32 s14, s14, s18
	s_cselect_b32 s2, -1, 0
	s_delay_alu instid0(SALU_CYCLE_1) | instskip(SKIP_1) | instid1(SALU_CYCLE_1)
	s_cmp_lg_u32 s2, 0
	s_add_co_ci_u32 s15, s15, s19
	s_mul_u64 s[16:17], s[16:17], s[14:15]
	s_delay_alu instid0(SALU_CYCLE_1)
	s_mul_hi_u32 s19, s14, s17
	s_mul_i32 s18, s14, s17
	s_mul_hi_u32 s20, s14, s16
	s_mul_i32 s5, s15, s16
	s_add_nc_u64 s[18:19], s[20:21], s[18:19]
	s_mul_hi_u32 s2, s15, s16
	s_mul_hi_u32 s11, s15, s17
	s_add_co_u32 s5, s18, s5
	s_add_co_ci_u32 s20, s19, s2
	s_mul_i32 s16, s15, s17
	s_add_co_ci_u32 s17, s11, 0
	s_delay_alu instid0(SALU_CYCLE_1) | instskip(NEXT) | instid1(SALU_CYCLE_1)
	s_add_nc_u64 s[16:17], s[20:21], s[16:17]
	s_add_co_u32 s2, s14, s16
	s_cselect_b32 s5, -1, 0
	v_nop
	v_mul_hi_u32 v20, v12, s2
	s_cmp_lg_u32 s5, 0
	s_add_co_ci_u32 s20, s15, s17
	s_mov_b64 s[14:15], 0xffffffff
	v_mul_u64_e32 v[16:17], s[20:21], v[12:13]
	s_and_b64 s[14:15], s[2:3], s[14:15]
	v_mul_u64_e32 v[18:19], s[20:21], v[14:15]
	v_mul_u64_e32 v[8:9], s[14:15], v[14:15]
	s_delay_alu instid0(VALU_DEP_3) | instskip(NEXT) | instid1(VALU_DEP_1)
	v_add_nc_u64_e32 v[16:17], v[20:21], v[16:17]
	v_add_co_u32 v3, vcc_lo, v16, v8
	s_delay_alu instid0(VALU_DEP_2) | instskip(SKIP_1) | instid1(VALU_DEP_1)
	v_add_co_ci_u32_e32 v10, vcc_lo, v17, v9, vcc_lo
	v_add_co_ci_u32_e32 v19, vcc_lo, 0, v19, vcc_lo
	v_add_nc_u64_e32 v[8:9], v[10:11], v[18:19]
	s_delay_alu instid0(VALU_DEP_1) | instskip(NEXT) | instid1(VALU_DEP_1)
	v_mul_u64_e32 v[10:11], s[6:7], v[8:9]
	v_sub_co_u32 v7, vcc_lo, v12, v10
	v_add_nc_u64_e32 v[12:13], 1, v[8:9]
	s_delay_alu instid0(VALU_DEP_3) | instskip(SKIP_1) | instid1(VALU_DEP_4)
	v_sub_nc_u32_e32 v3, v14, v11
	v_sub_co_ci_u32_e64 v14, null, v14, v11, vcc_lo
	v_sub_co_u32 v10, s2, v7, s6
	s_delay_alu instid0(VALU_DEP_3) | instskip(NEXT) | instid1(VALU_DEP_2)
	v_subrev_co_ci_u32_e64 v3, null, s7, v3, vcc_lo
	v_cmp_le_u32_e32 vcc_lo, s6, v10
	s_delay_alu instid0(VALU_DEP_2) | instskip(SKIP_1) | instid1(VALU_DEP_2)
	v_subrev_co_ci_u32_e64 v3, null, 0, v3, s2
	v_cndmask_b32_e64 v10, 0, -1, vcc_lo
	v_cmp_le_u32_e32 vcc_lo, s7, v3
	v_cndmask_b32_e64 v11, 0, -1, vcc_lo
	v_cmp_le_u32_e32 vcc_lo, s6, v7
	;; [unrolled: 2-line block ×3, first 2 shown]
	v_cndmask_b32_e64 v15, 0, -1, vcc_lo
	v_cmp_eq_u32_e32 vcc_lo, s7, v3
	v_cndmask_b32_e32 v3, v11, v10, vcc_lo
	v_cmp_eq_u32_e32 vcc_lo, s7, v14
	v_add_nc_u64_e32 v[10:11], 2, v[8:9]
	v_cndmask_b32_e32 v7, v15, v7, vcc_lo
	s_delay_alu instid0(VALU_DEP_4) | instskip(NEXT) | instid1(VALU_DEP_2)
	v_cmp_ne_u32_e32 vcc_lo, 0, v3
	v_cmp_ne_u32_e64 s2, 0, v7
	s_delay_alu instid0(VALU_DEP_4) | instskip(NEXT) | instid1(VALU_DEP_1)
	v_dual_cndmask_b32 v3, v13, v11, vcc_lo :: v_dual_cndmask_b32 v7, v12, v10, vcc_lo
	v_dual_cndmask_b32 v9, v9, v3, s2 :: v_dual_mov_b32 v3, v2
	s_delay_alu instid0(VALU_DEP_1) | instskip(NEXT) | instid1(VALU_DEP_1)
	v_dual_cndmask_b32 v7, v8, v7, s2 :: v_dual_bitop2_b32 v9, v9, v2 bitop3:0x14
	v_xor_b32_e32 v8, v7, v2
	s_delay_alu instid0(VALU_DEP_1)
	v_sub_nc_u64_e32 v[8:9], v[8:9], v[2:3]
.LBB43_11:
	s_and_not1_saveexec_b32 s2, s12
	s_cbranch_execz .LBB43_13
; %bb.12:
	v_cvt_f32_u32_e32 v2, s10
	s_sub_co_i32 s4, 0, s10
	s_delay_alu instid0(VALU_DEP_1) | instskip(SKIP_1) | instid1(TRANS32_DEP_1)
	v_rcp_iflag_f32_e32 v2, v2
	v_nop
	v_mul_f32_e32 v2, 0x4f7ffffe, v2
	s_delay_alu instid0(VALU_DEP_1) | instskip(NEXT) | instid1(VALU_DEP_1)
	v_cvt_u32_f32_e32 v2, v2
	v_mul_lo_u32 v3, s4, v2
	s_delay_alu instid0(VALU_DEP_1) | instskip(NEXT) | instid1(VALU_DEP_1)
	v_mul_hi_u32 v3, v2, v3
	v_add_nc_u32_e32 v2, v2, v3
	s_delay_alu instid0(VALU_DEP_1) | instskip(NEXT) | instid1(VALU_DEP_1)
	v_mul_hi_u32 v2, v0, v2
	v_mul_lo_u32 v3, v2, s10
	s_delay_alu instid0(VALU_DEP_1) | instskip(NEXT) | instid1(VALU_DEP_1)
	v_dual_add_nc_u32 v7, 1, v2 :: v_dual_sub_nc_u32 v3, v0, v3
	v_subrev_nc_u32_e32 v8, s10, v3
	v_cmp_le_u32_e32 vcc_lo, s10, v3
	s_delay_alu instid0(VALU_DEP_2) | instskip(NEXT) | instid1(VALU_DEP_1)
	v_dual_cndmask_b32 v3, v3, v8 :: v_dual_cndmask_b32 v2, v2, v7
	v_cmp_le_u32_e32 vcc_lo, s10, v3
	s_delay_alu instid0(VALU_DEP_2) | instskip(NEXT) | instid1(VALU_DEP_1)
	v_add_nc_u32_e32 v7, 1, v2
	v_cndmask_b32_e32 v8, v2, v7, vcc_lo
.LBB43_13:
	s_or_b32 exec_lo, exec_lo, s2
	v_mul_u64_e32 v[2:3], s[8:9], v[4:5]
	s_clause 0x1
	s_load_b128 s[20:23], s[0:1], 0xb0
	s_load_b512 s[4:19], s[0:1], 0x18
	s_bfe_u32 s2, ttmp6, 0x40014
	s_wait_kmcnt 0x0
	s_bfe_u32 s7, ttmp6, 0x40010
	s_lshr_b32 s24, ttmp7, 16
	s_and_b32 s5, ttmp7, 0xffff
	s_add_co_i32 s2, s2, 1
	s_add_co_i32 s7, s7, 1
	s_bfe_u32 s25, ttmp6, 0x40008
	s_bfe_u32 s9, ttmp6, 0x40004
	s_mul_i32 s2, s24, s2
	s_mul_i32 s7, s5, s7
	s_add_co_i32 s25, s25, s2
	s_add_co_i32 s9, s9, s7
	s_cmp_eq_u32 s3, 0
	s_load_b64 s[2:3], s[0:1], 0xa8
	s_cselect_b32 s7, s5, s9
	s_cselect_b32 s9, s24, s25
	v_dual_ashrrev_i32 v9, 31, v8 :: v_dual_ashrrev_i32 v7, 31, v6
	s_sub_co_i32 s25, 0, s20
	s_add_co_i32 s4, s20, s4
	s_sub_co_i32 s24, 0, s21
	s_add_co_i32 s4, s4, -1
	s_max_i32 s28, s20, 0
	v_maxmin_i32 v4, s20, v8, s4
	s_add_co_i32 s6, s21, s6
	s_max_i32 s25, s25, 0
	s_max_i32 s27, s21, 0
	;; [unrolled: 1-line block ×3, first 2 shown]
	s_add_co_i32 s4, s22, s8
	v_sub_nc_u64_e32 v[0:1], v[0:1], v[2:3]
	s_add_co_i32 s6, s6, -1
	s_sub_co_i32 s8, s25, s28
	v_maxmin_i32 v3, s21, v6, s6
	s_sub_co_i32 s6, s24, s27
	v_add_nc_u32_e32 v2, s8, v4
	s_sub_co_i32 s5, 0, s22
	s_max_i32 s26, s22, 0
	s_max_i32 s5, s5, 0
	s_add_co_i32 s4, s4, -1
	v_add_nc_u32_e32 v4, s6, v3
	v_maxmin_i32 v5, s22, v0, s4
	s_sub_co_i32 s4, s5, s26
	v_ashrrev_i32_e32 v3, 31, v2
	s_load_b32 s6, s[0:1], 0xc0
	s_delay_alu instid0(VALU_DEP_2) | instskip(NEXT) | instid1(VALU_DEP_2)
	v_dual_add_nc_u32 v10, s4, v5 :: v_dual_ashrrev_i32 v5, 31, v4
	v_mul_u64_e32 v[2:3], s[14:15], v[2:3]
	s_load_b64 s[4:5], s[0:1], 0x0
	s_wait_kmcnt 0x0
	v_mul_u64_e32 v[0:1], s[2:3], v[0:1]
	v_ashrrev_i32_e32 v11, 31, v10
	v_mul_u64_e32 v[4:5], s[16:17], v[4:5]
	s_add_co_i32 s16, s23, s7
	s_delay_alu instid0(SALU_CYCLE_1) | instskip(NEXT) | instid1(VALU_DEP_2)
	s_ashr_i32 s17, s16, 31
	v_mul_u64_e32 v[10:11], s[18:19], v[10:11]
	s_add_co_i32 s14, s6, s9
	s_mul_u64 s[8:9], s[12:13], s[16:17]
	s_ashr_i32 s15, s14, 31
	s_delay_alu instid0(SALU_CYCLE_1) | instskip(NEXT) | instid1(SALU_CYCLE_1)
	s_mul_u64 s[6:7], s[10:11], s[14:15]
	s_lshl_b64 s[6:7], s[6:7], 3
	s_delay_alu instid0(SALU_CYCLE_1) | instskip(SKIP_1) | instid1(SALU_CYCLE_1)
	s_add_nc_u64 s[4:5], s[4:5], s[6:7]
	s_lshl_b64 s[6:7], s[8:9], 3
	s_add_nc_u64 s[4:5], s[4:5], s[6:7]
	s_delay_alu instid0(SALU_CYCLE_1) | instskip(SKIP_1) | instid1(VALU_DEP_1)
	v_lshl_add_u64 v[2:3], v[2:3], 3, s[4:5]
	s_load_b256 s[4:11], s[0:1], 0x88
	v_lshl_add_u64 v[2:3], v[4:5], 3, v[2:3]
	s_wait_xcnt 0x0
	s_load_b64 s[0:1], s[0:1], 0x58
	s_delay_alu instid0(VALU_DEP_1)
	v_lshl_add_u64 v[2:3], v[10:11], 3, v[2:3]
	global_load_b64 v[2:3], v[2:3], off
	s_wait_kmcnt 0x0
	v_mul_u64_e32 v[4:5], s[8:9], v[8:9]
	v_mul_u64_e32 v[6:7], s[10:11], v[6:7]
	s_mul_u64 s[2:3], s[4:5], s[14:15]
	s_mul_u64 s[4:5], s[6:7], s[16:17]
	s_lshl_b64 s[2:3], s[2:3], 3
	s_delay_alu instid0(SALU_CYCLE_1) | instskip(SKIP_1) | instid1(SALU_CYCLE_1)
	s_add_nc_u64 s[0:1], s[0:1], s[2:3]
	s_lshl_b64 s[2:3], s[4:5], 3
	s_add_nc_u64 s[0:1], s[0:1], s[2:3]
	s_delay_alu instid0(VALU_DEP_2) | instid1(SALU_CYCLE_1)
	v_lshl_add_u64 v[4:5], v[4:5], 3, s[0:1]
	s_delay_alu instid0(VALU_DEP_1) | instskip(NEXT) | instid1(VALU_DEP_1)
	v_lshl_add_u64 v[4:5], v[6:7], 3, v[4:5]
	v_lshl_add_u64 v[0:1], v[0:1], 3, v[4:5]
	s_wait_loadcnt 0x0
	global_store_b64 v[0:1], v[2:3], off
.LBB43_14:
	s_endpgm
	.section	.rodata,"a",@progbits
	.p2align	6, 0x0
	.amdhsa_kernel _ZN2at6native12_GLOBAL__N_132replication_pad_forward_kernel3dIlEEvN5torch10headeronly6detail27GenericPackedTensorAccessorINS5_14TensorAccessorIN3c108ArrayRefIlEEKT_Lm4ENS4_16DefaultPtrTraitsElEENS_6detail16IndexBoundsCheckILm5ElEESC_Lm5ESD_lEENS6_INS7_ISA_SB_Lm4ESD_lEESH_SB_Lm5ESD_lEEiiiii
		.amdhsa_group_segment_fixed_size 0
		.amdhsa_private_segment_fixed_size 0
		.amdhsa_kernarg_size 456
		.amdhsa_user_sgpr_count 2
		.amdhsa_user_sgpr_dispatch_ptr 0
		.amdhsa_user_sgpr_queue_ptr 0
		.amdhsa_user_sgpr_kernarg_segment_ptr 1
		.amdhsa_user_sgpr_dispatch_id 0
		.amdhsa_user_sgpr_kernarg_preload_length 0
		.amdhsa_user_sgpr_kernarg_preload_offset 0
		.amdhsa_user_sgpr_private_segment_size 0
		.amdhsa_wavefront_size32 1
		.amdhsa_uses_dynamic_stack 0
		.amdhsa_enable_private_segment 0
		.amdhsa_system_sgpr_workgroup_id_x 1
		.amdhsa_system_sgpr_workgroup_id_y 1
		.amdhsa_system_sgpr_workgroup_id_z 1
		.amdhsa_system_sgpr_workgroup_info 0
		.amdhsa_system_vgpr_workitem_id 0
		.amdhsa_next_free_vgpr 22
		.amdhsa_next_free_sgpr 29
		.amdhsa_named_barrier_count 0
		.amdhsa_reserve_vcc 1
		.amdhsa_float_round_mode_32 0
		.amdhsa_float_round_mode_16_64 0
		.amdhsa_float_denorm_mode_32 3
		.amdhsa_float_denorm_mode_16_64 3
		.amdhsa_fp16_overflow 0
		.amdhsa_memory_ordered 1
		.amdhsa_forward_progress 1
		.amdhsa_inst_pref_size 23
		.amdhsa_round_robin_scheduling 0
		.amdhsa_exception_fp_ieee_invalid_op 0
		.amdhsa_exception_fp_denorm_src 0
		.amdhsa_exception_fp_ieee_div_zero 0
		.amdhsa_exception_fp_ieee_overflow 0
		.amdhsa_exception_fp_ieee_underflow 0
		.amdhsa_exception_fp_ieee_inexact 0
		.amdhsa_exception_int_div_zero 0
	.end_amdhsa_kernel
	.section	.text._ZN2at6native12_GLOBAL__N_132replication_pad_forward_kernel3dIlEEvN5torch10headeronly6detail27GenericPackedTensorAccessorINS5_14TensorAccessorIN3c108ArrayRefIlEEKT_Lm4ENS4_16DefaultPtrTraitsElEENS_6detail16IndexBoundsCheckILm5ElEESC_Lm5ESD_lEENS6_INS7_ISA_SB_Lm4ESD_lEESH_SB_Lm5ESD_lEEiiiii,"axG",@progbits,_ZN2at6native12_GLOBAL__N_132replication_pad_forward_kernel3dIlEEvN5torch10headeronly6detail27GenericPackedTensorAccessorINS5_14TensorAccessorIN3c108ArrayRefIlEEKT_Lm4ENS4_16DefaultPtrTraitsElEENS_6detail16IndexBoundsCheckILm5ElEESC_Lm5ESD_lEENS6_INS7_ISA_SB_Lm4ESD_lEESH_SB_Lm5ESD_lEEiiiii,comdat
.Lfunc_end43:
	.size	_ZN2at6native12_GLOBAL__N_132replication_pad_forward_kernel3dIlEEvN5torch10headeronly6detail27GenericPackedTensorAccessorINS5_14TensorAccessorIN3c108ArrayRefIlEEKT_Lm4ENS4_16DefaultPtrTraitsElEENS_6detail16IndexBoundsCheckILm5ElEESC_Lm5ESD_lEENS6_INS7_ISA_SB_Lm4ESD_lEESH_SB_Lm5ESD_lEEiiiii, .Lfunc_end43-_ZN2at6native12_GLOBAL__N_132replication_pad_forward_kernel3dIlEEvN5torch10headeronly6detail27GenericPackedTensorAccessorINS5_14TensorAccessorIN3c108ArrayRefIlEEKT_Lm4ENS4_16DefaultPtrTraitsElEENS_6detail16IndexBoundsCheckILm5ElEESC_Lm5ESD_lEENS6_INS7_ISA_SB_Lm4ESD_lEESH_SB_Lm5ESD_lEEiiiii
                                        ; -- End function
	.set _ZN2at6native12_GLOBAL__N_132replication_pad_forward_kernel3dIlEEvN5torch10headeronly6detail27GenericPackedTensorAccessorINS5_14TensorAccessorIN3c108ArrayRefIlEEKT_Lm4ENS4_16DefaultPtrTraitsElEENS_6detail16IndexBoundsCheckILm5ElEESC_Lm5ESD_lEENS6_INS7_ISA_SB_Lm4ESD_lEESH_SB_Lm5ESD_lEEiiiii.num_vgpr, 22
	.set _ZN2at6native12_GLOBAL__N_132replication_pad_forward_kernel3dIlEEvN5torch10headeronly6detail27GenericPackedTensorAccessorINS5_14TensorAccessorIN3c108ArrayRefIlEEKT_Lm4ENS4_16DefaultPtrTraitsElEENS_6detail16IndexBoundsCheckILm5ElEESC_Lm5ESD_lEENS6_INS7_ISA_SB_Lm4ESD_lEESH_SB_Lm5ESD_lEEiiiii.num_agpr, 0
	.set _ZN2at6native12_GLOBAL__N_132replication_pad_forward_kernel3dIlEEvN5torch10headeronly6detail27GenericPackedTensorAccessorINS5_14TensorAccessorIN3c108ArrayRefIlEEKT_Lm4ENS4_16DefaultPtrTraitsElEENS_6detail16IndexBoundsCheckILm5ElEESC_Lm5ESD_lEENS6_INS7_ISA_SB_Lm4ESD_lEESH_SB_Lm5ESD_lEEiiiii.numbered_sgpr, 29
	.set _ZN2at6native12_GLOBAL__N_132replication_pad_forward_kernel3dIlEEvN5torch10headeronly6detail27GenericPackedTensorAccessorINS5_14TensorAccessorIN3c108ArrayRefIlEEKT_Lm4ENS4_16DefaultPtrTraitsElEENS_6detail16IndexBoundsCheckILm5ElEESC_Lm5ESD_lEENS6_INS7_ISA_SB_Lm4ESD_lEESH_SB_Lm5ESD_lEEiiiii.num_named_barrier, 0
	.set _ZN2at6native12_GLOBAL__N_132replication_pad_forward_kernel3dIlEEvN5torch10headeronly6detail27GenericPackedTensorAccessorINS5_14TensorAccessorIN3c108ArrayRefIlEEKT_Lm4ENS4_16DefaultPtrTraitsElEENS_6detail16IndexBoundsCheckILm5ElEESC_Lm5ESD_lEENS6_INS7_ISA_SB_Lm4ESD_lEESH_SB_Lm5ESD_lEEiiiii.private_seg_size, 0
	.set _ZN2at6native12_GLOBAL__N_132replication_pad_forward_kernel3dIlEEvN5torch10headeronly6detail27GenericPackedTensorAccessorINS5_14TensorAccessorIN3c108ArrayRefIlEEKT_Lm4ENS4_16DefaultPtrTraitsElEENS_6detail16IndexBoundsCheckILm5ElEESC_Lm5ESD_lEENS6_INS7_ISA_SB_Lm4ESD_lEESH_SB_Lm5ESD_lEEiiiii.uses_vcc, 1
	.set _ZN2at6native12_GLOBAL__N_132replication_pad_forward_kernel3dIlEEvN5torch10headeronly6detail27GenericPackedTensorAccessorINS5_14TensorAccessorIN3c108ArrayRefIlEEKT_Lm4ENS4_16DefaultPtrTraitsElEENS_6detail16IndexBoundsCheckILm5ElEESC_Lm5ESD_lEENS6_INS7_ISA_SB_Lm4ESD_lEESH_SB_Lm5ESD_lEEiiiii.uses_flat_scratch, 0
	.set _ZN2at6native12_GLOBAL__N_132replication_pad_forward_kernel3dIlEEvN5torch10headeronly6detail27GenericPackedTensorAccessorINS5_14TensorAccessorIN3c108ArrayRefIlEEKT_Lm4ENS4_16DefaultPtrTraitsElEENS_6detail16IndexBoundsCheckILm5ElEESC_Lm5ESD_lEENS6_INS7_ISA_SB_Lm4ESD_lEESH_SB_Lm5ESD_lEEiiiii.has_dyn_sized_stack, 0
	.set _ZN2at6native12_GLOBAL__N_132replication_pad_forward_kernel3dIlEEvN5torch10headeronly6detail27GenericPackedTensorAccessorINS5_14TensorAccessorIN3c108ArrayRefIlEEKT_Lm4ENS4_16DefaultPtrTraitsElEENS_6detail16IndexBoundsCheckILm5ElEESC_Lm5ESD_lEENS6_INS7_ISA_SB_Lm4ESD_lEESH_SB_Lm5ESD_lEEiiiii.has_recursion, 0
	.set _ZN2at6native12_GLOBAL__N_132replication_pad_forward_kernel3dIlEEvN5torch10headeronly6detail27GenericPackedTensorAccessorINS5_14TensorAccessorIN3c108ArrayRefIlEEKT_Lm4ENS4_16DefaultPtrTraitsElEENS_6detail16IndexBoundsCheckILm5ElEESC_Lm5ESD_lEENS6_INS7_ISA_SB_Lm4ESD_lEESH_SB_Lm5ESD_lEEiiiii.has_indirect_call, 0
	.section	.AMDGPU.csdata,"",@progbits
; Kernel info:
; codeLenInByte = 2900
; TotalNumSgprs: 31
; NumVgprs: 22
; ScratchSize: 0
; MemoryBound: 0
; FloatMode: 240
; IeeeMode: 1
; LDSByteSize: 0 bytes/workgroup (compile time only)
; SGPRBlocks: 0
; VGPRBlocks: 1
; NumSGPRsForWavesPerEU: 31
; NumVGPRsForWavesPerEU: 22
; NamedBarCnt: 0
; Occupancy: 16
; WaveLimiterHint : 1
; COMPUTE_PGM_RSRC2:SCRATCH_EN: 0
; COMPUTE_PGM_RSRC2:USER_SGPR: 2
; COMPUTE_PGM_RSRC2:TRAP_HANDLER: 0
; COMPUTE_PGM_RSRC2:TGID_X_EN: 1
; COMPUTE_PGM_RSRC2:TGID_Y_EN: 1
; COMPUTE_PGM_RSRC2:TGID_Z_EN: 1
; COMPUTE_PGM_RSRC2:TIDIG_COMP_CNT: 0
	.section	.text._ZN2at6native12_GLOBAL__N_132replication_pad_forward_kernel3dIsEEvN5torch10headeronly6detail27GenericPackedTensorAccessorINS5_14TensorAccessorIN3c108ArrayRefIlEEKT_Lm4ENS4_16DefaultPtrTraitsElEENS_6detail16IndexBoundsCheckILm5ElEESC_Lm5ESD_lEENS6_INS7_ISA_SB_Lm4ESD_lEESH_SB_Lm5ESD_lEEiiiii,"axG",@progbits,_ZN2at6native12_GLOBAL__N_132replication_pad_forward_kernel3dIsEEvN5torch10headeronly6detail27GenericPackedTensorAccessorINS5_14TensorAccessorIN3c108ArrayRefIlEEKT_Lm4ENS4_16DefaultPtrTraitsElEENS_6detail16IndexBoundsCheckILm5ElEESC_Lm5ESD_lEENS6_INS7_ISA_SB_Lm4ESD_lEESH_SB_Lm5ESD_lEEiiiii,comdat
	.globl	_ZN2at6native12_GLOBAL__N_132replication_pad_forward_kernel3dIsEEvN5torch10headeronly6detail27GenericPackedTensorAccessorINS5_14TensorAccessorIN3c108ArrayRefIlEEKT_Lm4ENS4_16DefaultPtrTraitsElEENS_6detail16IndexBoundsCheckILm5ElEESC_Lm5ESD_lEENS6_INS7_ISA_SB_Lm4ESD_lEESH_SB_Lm5ESD_lEEiiiii ; -- Begin function _ZN2at6native12_GLOBAL__N_132replication_pad_forward_kernel3dIsEEvN5torch10headeronly6detail27GenericPackedTensorAccessorINS5_14TensorAccessorIN3c108ArrayRefIlEEKT_Lm4ENS4_16DefaultPtrTraitsElEENS_6detail16IndexBoundsCheckILm5ElEESC_Lm5ESD_lEENS6_INS7_ISA_SB_Lm4ESD_lEESH_SB_Lm5ESD_lEEiiiii
	.p2align	8
	.type	_ZN2at6native12_GLOBAL__N_132replication_pad_forward_kernel3dIsEEvN5torch10headeronly6detail27GenericPackedTensorAccessorINS5_14TensorAccessorIN3c108ArrayRefIlEEKT_Lm4ENS4_16DefaultPtrTraitsElEENS_6detail16IndexBoundsCheckILm5ElEESC_Lm5ESD_lEENS6_INS7_ISA_SB_Lm4ESD_lEESH_SB_Lm5ESD_lEEiiiii,@function
_ZN2at6native12_GLOBAL__N_132replication_pad_forward_kernel3dIsEEvN5torch10headeronly6detail27GenericPackedTensorAccessorINS5_14TensorAccessorIN3c108ArrayRefIlEEKT_Lm4ENS4_16DefaultPtrTraitsElEENS_6detail16IndexBoundsCheckILm5ElEESC_Lm5ESD_lEENS6_INS7_ISA_SB_Lm4ESD_lEESH_SB_Lm5ESD_lEEiiiii: ; @_ZN2at6native12_GLOBAL__N_132replication_pad_forward_kernel3dIsEEvN5torch10headeronly6detail27GenericPackedTensorAccessorINS5_14TensorAccessorIN3c108ArrayRefIlEEKT_Lm4ENS4_16DefaultPtrTraitsElEENS_6detail16IndexBoundsCheckILm5ElEESC_Lm5ESD_lEENS6_INS7_ISA_SB_Lm4ESD_lEESH_SB_Lm5ESD_lEEiiiii
; %bb.0:
	s_load_b32 s2, s[0:1], 0xd4
	s_bfe_u32 s4, ttmp6, 0x4000c
	s_and_b32 s10, ttmp6, 15
	s_add_co_i32 s11, s4, 1
	s_clause 0x1
	s_load_b128 s[4:7], s[0:1], 0x70
	s_load_b64 s[8:9], s[0:1], 0x80
	s_mul_i32 s11, ttmp9, s11
	s_getreg_b32 s3, hwreg(HW_REG_IB_STS2, 6, 4)
	s_add_co_i32 s10, s10, s11
	s_wait_kmcnt 0x0
	s_and_b32 s2, s2, 0xffff
	s_cmp_eq_u32 s3, 0
	s_cselect_b32 s10, ttmp9, s10
	s_delay_alu instid0(SALU_CYCLE_1) | instskip(SKIP_3) | instid1(VALU_DEP_1)
	v_mad_u32 v0, s10, s2, v0
	s_mul_u64 s[10:11], s[8:9], s[6:7]
	s_mov_b32 s2, exec_lo
	s_mul_u64 s[4:5], s[10:11], s[4:5]
	v_ashrrev_i32_e32 v1, 31, v0
	s_delay_alu instid0(VALU_DEP_1)
	v_cmpx_gt_i64_e64 s[4:5], v[0:1]
	s_cbranch_execz .LBB44_14
; %bb.1:
	v_dual_mov_b32 v6, 0 :: v_dual_bitop2_b32 v7, s9, v1 bitop3:0x54
	v_ashrrev_i32_e32 v2, 31, v1
                                        ; implicit-def: $vgpr4_vgpr5
	s_mov_b32 s2, exec_lo
	s_delay_alu instid0(VALU_DEP_2)
	v_cmpx_ne_u64_e32 0, v[6:7]
	s_xor_b32 s14, exec_lo, s2
	s_cbranch_execz .LBB44_3
; %bb.2:
	s_ashr_i32 s4, s9, 31
	s_mov_b32 s23, 0
	s_mov_b32 s5, s4
	v_dual_mov_b32 v3, v2 :: v_dual_mov_b32 v9, v6
	s_add_nc_u64 s[12:13], s[8:9], s[4:5]
	v_mov_b32_e32 v7, v6
	s_xor_b64 s[12:13], s[12:13], s[4:5]
	s_delay_alu instid0(VALU_DEP_2) | instskip(SKIP_4) | instid1(SALU_CYCLE_1)
	v_add_nc_u64_e32 v[4:5], v[0:1], v[2:3]
	s_cvt_f32_u32 s2, s12
	s_cvt_f32_u32 s5, s13
	s_sub_nc_u64 s[18:19], 0, s[12:13]
	v_dual_mov_b32 v11, v6 :: v_dual_mov_b32 v17, v6
	s_fmamk_f32 s2, s5, 0x4f800000, s2
	s_delay_alu instid0(VALU_DEP_2) | instskip(SKIP_1) | instid1(SALU_CYCLE_1)
	v_xor_b32_e32 v8, v4, v2
	v_xor_b32_e32 v10, v5, v2
	v_s_rcp_f32 s2, s2
	s_delay_alu instid0(TRANS32_DEP_1) | instskip(NEXT) | instid1(SALU_CYCLE_3)
	s_mul_f32 s2, s2, 0x5f7ffffc
	s_mul_f32 s5, s2, 0x2f800000
	s_delay_alu instid0(SALU_CYCLE_3) | instskip(NEXT) | instid1(SALU_CYCLE_3)
	s_trunc_f32 s5, s5
	s_fmamk_f32 s2, s5, 0xcf800000, s2
	s_cvt_u32_f32 s17, s5
	s_delay_alu instid0(SALU_CYCLE_2) | instskip(NEXT) | instid1(SALU_CYCLE_3)
	s_cvt_u32_f32 s16, s2
	s_mul_u64 s[20:21], s[18:19], s[16:17]
	s_delay_alu instid0(SALU_CYCLE_1)
	s_mul_hi_u32 s25, s16, s21
	s_mul_i32 s24, s16, s21
	s_mul_hi_u32 s22, s16, s20
	s_mul_i32 s5, s17, s20
	s_add_nc_u64 s[24:25], s[22:23], s[24:25]
	s_mul_hi_u32 s2, s17, s20
	s_mul_hi_u32 s15, s17, s21
	s_add_co_u32 s5, s24, s5
	s_add_co_ci_u32 s22, s25, s2
	s_mul_i32 s20, s17, s21
	s_add_co_ci_u32 s21, s15, 0
	s_delay_alu instid0(SALU_CYCLE_1) | instskip(NEXT) | instid1(SALU_CYCLE_1)
	s_add_nc_u64 s[20:21], s[22:23], s[20:21]
	s_add_co_u32 s16, s16, s20
	s_cselect_b32 s2, -1, 0
	s_delay_alu instid0(SALU_CYCLE_1) | instskip(SKIP_1) | instid1(SALU_CYCLE_1)
	s_cmp_lg_u32 s2, 0
	s_add_co_ci_u32 s17, s17, s21
	s_mul_u64 s[18:19], s[18:19], s[16:17]
	s_delay_alu instid0(SALU_CYCLE_1)
	s_mul_hi_u32 s21, s16, s19
	s_mul_i32 s20, s16, s19
	s_mul_hi_u32 s22, s16, s18
	s_mul_i32 s5, s17, s18
	s_add_nc_u64 s[20:21], s[22:23], s[20:21]
	s_mul_hi_u32 s2, s17, s18
	s_mul_hi_u32 s15, s17, s19
	s_add_co_u32 s5, s20, s5
	s_add_co_ci_u32 s22, s21, s2
	s_mul_i32 s18, s17, s19
	s_add_co_ci_u32 s19, s15, 0
	s_delay_alu instid0(SALU_CYCLE_1) | instskip(NEXT) | instid1(SALU_CYCLE_1)
	s_add_nc_u64 s[18:19], s[22:23], s[18:19]
	s_add_co_u32 s2, s16, s18
	s_cselect_b32 s5, -1, 0
	v_nop
	v_mul_hi_u32 v16, v8, s2
	s_cmp_lg_u32 s5, 0
	s_add_co_ci_u32 s22, s17, s19
	s_mov_b64 s[16:17], 0xffffffff
	v_mul_u64_e32 v[12:13], s[22:23], v[8:9]
	s_and_b64 s[16:17], s[2:3], s[16:17]
	v_mul_u64_e32 v[14:15], s[22:23], v[10:11]
	v_mul_u64_e32 v[4:5], s[16:17], v[10:11]
	s_delay_alu instid0(VALU_DEP_3) | instskip(NEXT) | instid1(VALU_DEP_1)
	v_add_nc_u64_e32 v[12:13], v[16:17], v[12:13]
	v_add_co_u32 v3, vcc_lo, v12, v4
	s_delay_alu instid0(VALU_DEP_2) | instskip(SKIP_1) | instid1(VALU_DEP_1)
	v_add_co_ci_u32_e32 v6, vcc_lo, v13, v5, vcc_lo
	v_add_co_ci_u32_e32 v15, vcc_lo, 0, v15, vcc_lo
	v_add_nc_u64_e32 v[4:5], v[6:7], v[14:15]
	s_delay_alu instid0(VALU_DEP_1) | instskip(NEXT) | instid1(VALU_DEP_1)
	v_mul_u64_e32 v[6:7], s[12:13], v[4:5]
	v_sub_nc_u32_e32 v3, v10, v7
	s_delay_alu instid0(VALU_DEP_2) | instskip(NEXT) | instid1(VALU_DEP_1)
	v_sub_co_u32 v6, vcc_lo, v8, v6
	v_sub_co_ci_u32_e64 v10, null, v10, v7, vcc_lo
	s_delay_alu instid0(VALU_DEP_3) | instskip(NEXT) | instid1(VALU_DEP_3)
	v_subrev_co_ci_u32_e64 v3, null, s13, v3, vcc_lo
	v_sub_co_u32 v8, s2, v6, s12
	s_delay_alu instid0(VALU_DEP_1) | instskip(NEXT) | instid1(VALU_DEP_2)
	v_subrev_co_ci_u32_e64 v3, null, 0, v3, s2
	v_cmp_le_u32_e32 vcc_lo, s12, v8
	v_cndmask_b32_e64 v7, 0, -1, vcc_lo
	s_delay_alu instid0(VALU_DEP_3)
	v_cmp_le_u32_e32 vcc_lo, s13, v3
	v_cndmask_b32_e64 v8, 0, -1, vcc_lo
	v_cmp_le_u32_e32 vcc_lo, s12, v6
	v_cndmask_b32_e64 v11, 0, -1, vcc_lo
	;; [unrolled: 2-line block ×3, first 2 shown]
	v_cmp_eq_u32_e32 vcc_lo, s13, v3
	v_cndmask_b32_e32 v3, v8, v7, vcc_lo
	v_cmp_eq_u32_e32 vcc_lo, s13, v10
	v_add_nc_u64_e32 v[6:7], 2, v[4:5]
	v_add_nc_u64_e32 v[8:9], 1, v[4:5]
	v_cndmask_b32_e32 v10, v12, v11, vcc_lo
	v_cmp_ne_u32_e32 vcc_lo, 0, v3
	s_delay_alu instid0(VALU_DEP_2) | instskip(NEXT) | instid1(VALU_DEP_4)
	v_cmp_ne_u32_e64 s2, 0, v10
	v_dual_cndmask_b32 v3, v9, v7, vcc_lo :: v_dual_cndmask_b32 v7, v8, v6, vcc_lo
	s_delay_alu instid0(VALU_DEP_1) | instskip(NEXT) | instid1(VALU_DEP_1)
	v_dual_cndmask_b32 v4, v4, v7, s2 :: v_dual_bitop2_b32 v6, s4, v2 bitop3:0x14
	v_dual_cndmask_b32 v3, v5, v3, s2 :: v_dual_mov_b32 v7, v6
	s_delay_alu instid0(VALU_DEP_2) | instskip(NEXT) | instid1(VALU_DEP_2)
	v_xor_b32_e32 v4, v4, v6
	v_xor_b32_e32 v5, v3, v6
	s_delay_alu instid0(VALU_DEP_1)
	v_sub_nc_u64_e32 v[4:5], v[4:5], v[6:7]
.LBB44_3:
	s_and_not1_saveexec_b32 s2, s14
	s_cbranch_execz .LBB44_5
; %bb.4:
	v_cvt_f32_u32_e32 v3, s8
	s_sub_co_i32 s4, 0, s8
	s_delay_alu instid0(VALU_DEP_1) | instskip(SKIP_1) | instid1(TRANS32_DEP_1)
	v_rcp_iflag_f32_e32 v3, v3
	v_nop
	v_mul_f32_e32 v3, 0x4f7ffffe, v3
	s_delay_alu instid0(VALU_DEP_1) | instskip(NEXT) | instid1(VALU_DEP_1)
	v_cvt_u32_f32_e32 v3, v3
	v_mul_lo_u32 v4, s4, v3
	s_delay_alu instid0(VALU_DEP_1) | instskip(NEXT) | instid1(VALU_DEP_1)
	v_mul_hi_u32 v4, v3, v4
	v_add_nc_u32_e32 v3, v3, v4
	s_delay_alu instid0(VALU_DEP_1) | instskip(NEXT) | instid1(VALU_DEP_1)
	v_mul_hi_u32 v3, v0, v3
	v_mul_lo_u32 v4, v3, s8
	s_delay_alu instid0(VALU_DEP_1) | instskip(NEXT) | instid1(VALU_DEP_1)
	v_dual_add_nc_u32 v5, 1, v3 :: v_dual_sub_nc_u32 v4, v0, v4
	v_subrev_nc_u32_e32 v6, s8, v4
	v_cmp_le_u32_e32 vcc_lo, s8, v4
	s_delay_alu instid0(VALU_DEP_2) | instskip(NEXT) | instid1(VALU_DEP_1)
	v_dual_cndmask_b32 v4, v4, v6 :: v_dual_cndmask_b32 v3, v3, v5
	v_cmp_le_u32_e32 vcc_lo, s8, v4
	s_delay_alu instid0(VALU_DEP_2) | instskip(NEXT) | instid1(VALU_DEP_1)
	v_add_nc_u32_e32 v5, 1, v3
	v_dual_cndmask_b32 v4, v3, v5 :: v_dual_mov_b32 v5, 0
.LBB44_5:
	s_or_b32 exec_lo, exec_lo, s2
	s_delay_alu instid0(VALU_DEP_1) | instskip(SKIP_1) | instid1(VALU_DEP_1)
	v_dual_mov_b32 v8, 0 :: v_dual_bitop2_b32 v9, s7, v5 bitop3:0x54
                                        ; implicit-def: $vgpr6_vgpr7
	s_mov_b32 s2, exec_lo
	v_cmpx_ne_u64_e32 0, v[8:9]
	s_xor_b32 s12, exec_lo, s2
	s_cbranch_execz .LBB44_7
; %bb.6:
	s_ashr_i32 s4, s7, 31
	s_mov_b32 s21, 0
	s_mov_b32 s5, s4
	v_dual_mov_b32 v13, v8 :: v_dual_ashrrev_i32 v6, 31, v5
	s_add_nc_u64 s[14:15], s[6:7], s[4:5]
	v_mov_b32_e32 v15, v8
	s_xor_b64 s[4:5], s[14:15], s[4:5]
	s_delay_alu instid0(VALU_DEP_2)
	v_mov_b32_e32 v7, v6
	s_cvt_f32_u32 s2, s4
	s_cvt_f32_u32 s7, s5
	s_sub_nc_u64 s[16:17], 0, s[4:5]
	v_mov_b32_e32 v21, v8
	v_add_nc_u64_e32 v[10:11], v[4:5], v[6:7]
	s_fmamk_f32 s2, s7, 0x4f800000, s2
	v_mov_b32_e32 v9, v8
	s_delay_alu instid0(SALU_CYCLE_2) | instskip(NEXT) | instid1(VALU_DEP_2)
	v_s_rcp_f32 s2, s2
	v_xor_b32_e32 v12, v10, v6
	s_delay_alu instid0(VALU_DEP_3) | instskip(NEXT) | instid1(TRANS32_DEP_1)
	v_xor_b32_e32 v14, v11, v6
	s_mul_f32 s2, s2, 0x5f7ffffc
	s_delay_alu instid0(SALU_CYCLE_3) | instskip(NEXT) | instid1(SALU_CYCLE_3)
	s_mul_f32 s7, s2, 0x2f800000
	s_trunc_f32 s7, s7
	s_delay_alu instid0(SALU_CYCLE_3) | instskip(SKIP_1) | instid1(SALU_CYCLE_2)
	s_fmamk_f32 s2, s7, 0xcf800000, s2
	s_cvt_u32_f32 s15, s7
	s_cvt_u32_f32 s14, s2
	s_delay_alu instid0(SALU_CYCLE_3) | instskip(NEXT) | instid1(SALU_CYCLE_1)
	s_mul_u64 s[18:19], s[16:17], s[14:15]
	s_mul_hi_u32 s23, s14, s19
	s_mul_i32 s22, s14, s19
	s_mul_hi_u32 s20, s14, s18
	s_mul_i32 s7, s15, s18
	s_add_nc_u64 s[22:23], s[20:21], s[22:23]
	s_mul_hi_u32 s2, s15, s18
	s_mul_hi_u32 s13, s15, s19
	s_add_co_u32 s7, s22, s7
	s_add_co_ci_u32 s20, s23, s2
	s_mul_i32 s18, s15, s19
	s_add_co_ci_u32 s19, s13, 0
	s_delay_alu instid0(SALU_CYCLE_1) | instskip(NEXT) | instid1(SALU_CYCLE_1)
	s_add_nc_u64 s[18:19], s[20:21], s[18:19]
	s_add_co_u32 s14, s14, s18
	s_cselect_b32 s2, -1, 0
	s_delay_alu instid0(SALU_CYCLE_1) | instskip(SKIP_1) | instid1(SALU_CYCLE_1)
	s_cmp_lg_u32 s2, 0
	s_add_co_ci_u32 s15, s15, s19
	s_mul_u64 s[16:17], s[16:17], s[14:15]
	s_delay_alu instid0(SALU_CYCLE_1)
	s_mul_hi_u32 s19, s14, s17
	s_mul_i32 s18, s14, s17
	s_mul_hi_u32 s20, s14, s16
	s_mul_i32 s7, s15, s16
	s_add_nc_u64 s[18:19], s[20:21], s[18:19]
	s_mul_hi_u32 s2, s15, s16
	s_mul_hi_u32 s13, s15, s17
	s_add_co_u32 s7, s18, s7
	s_add_co_ci_u32 s20, s19, s2
	s_mul_i32 s16, s15, s17
	s_add_co_ci_u32 s17, s13, 0
	s_delay_alu instid0(SALU_CYCLE_1) | instskip(NEXT) | instid1(SALU_CYCLE_1)
	s_add_nc_u64 s[16:17], s[20:21], s[16:17]
	s_add_co_u32 s2, s14, s16
	s_cselect_b32 s7, -1, 0
	v_mul_hi_u32 v20, v12, s2
	s_cmp_lg_u32 s7, 0
	s_add_co_ci_u32 s20, s15, s17
	s_mov_b64 s[14:15], 0xffffffff
	v_mul_u64_e32 v[16:17], s[20:21], v[12:13]
	s_and_b64 s[14:15], s[2:3], s[14:15]
	v_mul_u64_e32 v[18:19], s[20:21], v[14:15]
	v_mul_u64_e32 v[10:11], s[14:15], v[14:15]
	s_delay_alu instid0(VALU_DEP_3) | instskip(NEXT) | instid1(VALU_DEP_1)
	v_add_nc_u64_e32 v[16:17], v[20:21], v[16:17]
	v_add_co_u32 v3, vcc_lo, v16, v10
	s_delay_alu instid0(VALU_DEP_2) | instskip(SKIP_1) | instid1(VALU_DEP_1)
	v_add_co_ci_u32_e32 v8, vcc_lo, v17, v11, vcc_lo
	v_add_co_ci_u32_e32 v19, vcc_lo, 0, v19, vcc_lo
	v_add_nc_u64_e32 v[8:9], v[8:9], v[18:19]
	s_delay_alu instid0(VALU_DEP_1) | instskip(NEXT) | instid1(VALU_DEP_1)
	v_mul_u64_e32 v[8:9], s[4:5], v[8:9]
	v_sub_co_u32 v8, vcc_lo, v12, v8
	s_delay_alu instid0(VALU_DEP_1) | instskip(NEXT) | instid1(VALU_DEP_1)
	v_cmp_le_u32_e64 s2, s4, v8
	v_cndmask_b32_e64 v12, 0, -1, s2
	s_delay_alu instid0(VALU_DEP_4) | instskip(SKIP_1) | instid1(VALU_DEP_2)
	v_sub_nc_u32_e32 v3, v14, v9
	v_sub_co_ci_u32_e64 v9, null, v14, v9, vcc_lo
	v_subrev_co_ci_u32_e64 v3, null, s5, v3, vcc_lo
	v_sub_co_u32 v10, vcc_lo, v8, s4
	s_delay_alu instid0(VALU_DEP_1) | instskip(NEXT) | instid1(VALU_DEP_2)
	v_subrev_co_ci_u32_e64 v11, null, 0, v3, vcc_lo
	v_cmp_le_u32_e64 s2, s4, v10
	v_subrev_co_ci_u32_e64 v3, null, s5, v3, vcc_lo
	v_cmp_le_u32_e32 vcc_lo, s5, v9
	s_delay_alu instid0(VALU_DEP_3) | instskip(SKIP_3) | instid1(VALU_DEP_3)
	v_cndmask_b32_e64 v13, 0, -1, s2
	v_cmp_le_u32_e64 s2, s5, v11
	v_cndmask_b32_e64 v15, 0, -1, vcc_lo
	v_cmp_eq_u32_e32 vcc_lo, s5, v11
	v_cndmask_b32_e64 v14, 0, -1, s2
	v_cmp_eq_u32_e64 s2, s5, v9
	s_delay_alu instid0(VALU_DEP_2) | instskip(SKIP_1) | instid1(VALU_DEP_1)
	v_cndmask_b32_e32 v13, v14, v13, vcc_lo
	v_sub_co_u32 v14, vcc_lo, v10, s4
	v_subrev_co_ci_u32_e64 v3, null, 0, v3, vcc_lo
	s_delay_alu instid0(VALU_DEP_3) | instskip(SKIP_1) | instid1(VALU_DEP_3)
	v_cmp_ne_u32_e32 vcc_lo, 0, v13
	v_cndmask_b32_e64 v12, v15, v12, s2
	v_dual_cndmask_b32 v3, v11, v3 :: v_dual_cndmask_b32 v10, v10, v14
	s_delay_alu instid0(VALU_DEP_2) | instskip(NEXT) | instid1(VALU_DEP_2)
	v_cmp_ne_u32_e32 vcc_lo, 0, v12
	v_dual_cndmask_b32 v3, v9, v3 :: v_dual_cndmask_b32 v8, v8, v10
	s_delay_alu instid0(VALU_DEP_1) | instskip(NEXT) | instid1(VALU_DEP_2)
	v_xor_b32_e32 v9, v3, v6
	v_xor_b32_e32 v8, v8, v6
	s_delay_alu instid0(VALU_DEP_1)
	v_sub_nc_u64_e32 v[6:7], v[8:9], v[6:7]
.LBB44_7:
	s_and_not1_saveexec_b32 s2, s12
	s_cbranch_execz .LBB44_9
; %bb.8:
	v_cvt_f32_u32_e32 v3, s6
	s_sub_co_i32 s4, 0, s6
	s_delay_alu instid0(VALU_DEP_1) | instskip(SKIP_1) | instid1(TRANS32_DEP_1)
	v_rcp_iflag_f32_e32 v3, v3
	v_nop
	v_mul_f32_e32 v3, 0x4f7ffffe, v3
	s_delay_alu instid0(VALU_DEP_1) | instskip(NEXT) | instid1(VALU_DEP_1)
	v_cvt_u32_f32_e32 v3, v3
	v_mul_lo_u32 v6, s4, v3
	s_delay_alu instid0(VALU_DEP_1) | instskip(NEXT) | instid1(VALU_DEP_1)
	v_mul_hi_u32 v6, v3, v6
	v_add_nc_u32_e32 v3, v3, v6
	s_delay_alu instid0(VALU_DEP_1) | instskip(NEXT) | instid1(VALU_DEP_1)
	v_mul_hi_u32 v3, v4, v3
	v_mul_lo_u32 v3, v3, s6
	s_delay_alu instid0(VALU_DEP_1) | instskip(NEXT) | instid1(VALU_DEP_1)
	v_sub_nc_u32_e32 v3, v4, v3
	v_subrev_nc_u32_e32 v6, s6, v3
	v_cmp_le_u32_e32 vcc_lo, s6, v3
	s_delay_alu instid0(VALU_DEP_2) | instskip(NEXT) | instid1(VALU_DEP_1)
	v_cndmask_b32_e32 v3, v3, v6, vcc_lo
	v_subrev_nc_u32_e32 v6, s6, v3
	v_cmp_le_u32_e32 vcc_lo, s6, v3
	s_delay_alu instid0(VALU_DEP_2)
	v_cndmask_b32_e32 v6, v3, v6, vcc_lo
.LBB44_9:
	s_or_b32 exec_lo, exec_lo, s2
	v_dual_mov_b32 v10, 0 :: v_dual_bitop2_b32 v11, s11, v1 bitop3:0x54
                                        ; implicit-def: $vgpr8_vgpr9
	s_mov_b32 s2, exec_lo
	s_delay_alu instid0(VALU_DEP_1)
	v_cmpx_ne_u64_e32 0, v[10:11]
	s_xor_b32 s12, exec_lo, s2
	s_cbranch_execz .LBB44_11
; %bb.10:
	s_ashr_i32 s4, s11, 31
	s_mov_b32 s21, 0
	s_mov_b32 s5, s4
	v_dual_mov_b32 v3, v2 :: v_dual_mov_b32 v13, v10
	s_add_nc_u64 s[6:7], s[10:11], s[4:5]
	v_mov_b32_e32 v11, v10
	s_xor_b64 s[6:7], s[6:7], s[4:5]
	s_delay_alu instid0(VALU_DEP_2) | instskip(SKIP_4) | instid1(SALU_CYCLE_1)
	v_add_nc_u64_e32 v[8:9], v[0:1], v[2:3]
	s_cvt_f32_u32 s2, s6
	s_cvt_f32_u32 s5, s7
	s_sub_nc_u64 s[16:17], 0, s[6:7]
	v_dual_mov_b32 v15, v10 :: v_dual_mov_b32 v21, v10
	s_fmamk_f32 s2, s5, 0x4f800000, s2
	s_delay_alu instid0(VALU_DEP_2) | instskip(SKIP_3) | instid1(TRANS32_DEP_1)
	v_xor_b32_e32 v12, v8, v2
	v_xor_b32_e32 v14, v9, v2
	;; [unrolled: 1-line block ×3, first 2 shown]
	v_s_rcp_f32 s2, s2
	s_mul_f32 s2, s2, 0x5f7ffffc
	s_delay_alu instid0(SALU_CYCLE_3) | instskip(NEXT) | instid1(SALU_CYCLE_3)
	s_mul_f32 s5, s2, 0x2f800000
	s_trunc_f32 s5, s5
	s_delay_alu instid0(SALU_CYCLE_3) | instskip(SKIP_1) | instid1(SALU_CYCLE_2)
	s_fmamk_f32 s2, s5, 0xcf800000, s2
	s_cvt_u32_f32 s15, s5
	s_cvt_u32_f32 s14, s2
	s_delay_alu instid0(SALU_CYCLE_3) | instskip(NEXT) | instid1(SALU_CYCLE_1)
	s_mul_u64 s[18:19], s[16:17], s[14:15]
	s_mul_hi_u32 s23, s14, s19
	s_mul_i32 s22, s14, s19
	s_mul_hi_u32 s20, s14, s18
	s_mul_i32 s5, s15, s18
	s_add_nc_u64 s[22:23], s[20:21], s[22:23]
	s_mul_hi_u32 s2, s15, s18
	s_mul_hi_u32 s11, s15, s19
	s_add_co_u32 s5, s22, s5
	s_add_co_ci_u32 s20, s23, s2
	s_mul_i32 s18, s15, s19
	s_add_co_ci_u32 s19, s11, 0
	s_delay_alu instid0(SALU_CYCLE_1) | instskip(NEXT) | instid1(SALU_CYCLE_1)
	s_add_nc_u64 s[18:19], s[20:21], s[18:19]
	s_add_co_u32 s14, s14, s18
	s_cselect_b32 s2, -1, 0
	s_delay_alu instid0(SALU_CYCLE_1) | instskip(SKIP_1) | instid1(SALU_CYCLE_1)
	s_cmp_lg_u32 s2, 0
	s_add_co_ci_u32 s15, s15, s19
	s_mul_u64 s[16:17], s[16:17], s[14:15]
	s_delay_alu instid0(SALU_CYCLE_1)
	s_mul_hi_u32 s19, s14, s17
	s_mul_i32 s18, s14, s17
	s_mul_hi_u32 s20, s14, s16
	s_mul_i32 s5, s15, s16
	s_add_nc_u64 s[18:19], s[20:21], s[18:19]
	s_mul_hi_u32 s2, s15, s16
	s_mul_hi_u32 s11, s15, s17
	s_add_co_u32 s5, s18, s5
	s_add_co_ci_u32 s20, s19, s2
	s_mul_i32 s16, s15, s17
	s_add_co_ci_u32 s17, s11, 0
	s_delay_alu instid0(SALU_CYCLE_1) | instskip(NEXT) | instid1(SALU_CYCLE_1)
	s_add_nc_u64 s[16:17], s[20:21], s[16:17]
	s_add_co_u32 s2, s14, s16
	s_cselect_b32 s5, -1, 0
	v_nop
	v_mul_hi_u32 v20, v12, s2
	s_cmp_lg_u32 s5, 0
	s_add_co_ci_u32 s20, s15, s17
	s_mov_b64 s[14:15], 0xffffffff
	v_mul_u64_e32 v[16:17], s[20:21], v[12:13]
	s_and_b64 s[14:15], s[2:3], s[14:15]
	v_mul_u64_e32 v[18:19], s[20:21], v[14:15]
	v_mul_u64_e32 v[8:9], s[14:15], v[14:15]
	s_delay_alu instid0(VALU_DEP_3) | instskip(NEXT) | instid1(VALU_DEP_1)
	v_add_nc_u64_e32 v[16:17], v[20:21], v[16:17]
	v_add_co_u32 v3, vcc_lo, v16, v8
	s_delay_alu instid0(VALU_DEP_2) | instskip(SKIP_1) | instid1(VALU_DEP_1)
	v_add_co_ci_u32_e32 v10, vcc_lo, v17, v9, vcc_lo
	v_add_co_ci_u32_e32 v19, vcc_lo, 0, v19, vcc_lo
	v_add_nc_u64_e32 v[8:9], v[10:11], v[18:19]
	s_delay_alu instid0(VALU_DEP_1) | instskip(NEXT) | instid1(VALU_DEP_1)
	v_mul_u64_e32 v[10:11], s[6:7], v[8:9]
	v_sub_co_u32 v7, vcc_lo, v12, v10
	v_add_nc_u64_e32 v[12:13], 1, v[8:9]
	s_delay_alu instid0(VALU_DEP_3) | instskip(SKIP_1) | instid1(VALU_DEP_4)
	v_sub_nc_u32_e32 v3, v14, v11
	v_sub_co_ci_u32_e64 v14, null, v14, v11, vcc_lo
	v_sub_co_u32 v10, s2, v7, s6
	s_delay_alu instid0(VALU_DEP_3) | instskip(NEXT) | instid1(VALU_DEP_2)
	v_subrev_co_ci_u32_e64 v3, null, s7, v3, vcc_lo
	v_cmp_le_u32_e32 vcc_lo, s6, v10
	s_delay_alu instid0(VALU_DEP_2) | instskip(SKIP_1) | instid1(VALU_DEP_2)
	v_subrev_co_ci_u32_e64 v3, null, 0, v3, s2
	v_cndmask_b32_e64 v10, 0, -1, vcc_lo
	v_cmp_le_u32_e32 vcc_lo, s7, v3
	v_cndmask_b32_e64 v11, 0, -1, vcc_lo
	v_cmp_le_u32_e32 vcc_lo, s6, v7
	;; [unrolled: 2-line block ×3, first 2 shown]
	v_cndmask_b32_e64 v15, 0, -1, vcc_lo
	v_cmp_eq_u32_e32 vcc_lo, s7, v3
	v_cndmask_b32_e32 v3, v11, v10, vcc_lo
	v_cmp_eq_u32_e32 vcc_lo, s7, v14
	v_add_nc_u64_e32 v[10:11], 2, v[8:9]
	v_cndmask_b32_e32 v7, v15, v7, vcc_lo
	s_delay_alu instid0(VALU_DEP_4) | instskip(NEXT) | instid1(VALU_DEP_2)
	v_cmp_ne_u32_e32 vcc_lo, 0, v3
	v_cmp_ne_u32_e64 s2, 0, v7
	s_delay_alu instid0(VALU_DEP_4) | instskip(NEXT) | instid1(VALU_DEP_1)
	v_dual_cndmask_b32 v3, v13, v11, vcc_lo :: v_dual_cndmask_b32 v7, v12, v10, vcc_lo
	v_dual_cndmask_b32 v9, v9, v3, s2 :: v_dual_mov_b32 v3, v2
	s_delay_alu instid0(VALU_DEP_1) | instskip(NEXT) | instid1(VALU_DEP_1)
	v_dual_cndmask_b32 v7, v8, v7, s2 :: v_dual_bitop2_b32 v9, v9, v2 bitop3:0x14
	v_xor_b32_e32 v8, v7, v2
	s_delay_alu instid0(VALU_DEP_1)
	v_sub_nc_u64_e32 v[8:9], v[8:9], v[2:3]
.LBB44_11:
	s_and_not1_saveexec_b32 s2, s12
	s_cbranch_execz .LBB44_13
; %bb.12:
	v_cvt_f32_u32_e32 v2, s10
	s_sub_co_i32 s4, 0, s10
	s_delay_alu instid0(VALU_DEP_1) | instskip(SKIP_1) | instid1(TRANS32_DEP_1)
	v_rcp_iflag_f32_e32 v2, v2
	v_nop
	v_mul_f32_e32 v2, 0x4f7ffffe, v2
	s_delay_alu instid0(VALU_DEP_1) | instskip(NEXT) | instid1(VALU_DEP_1)
	v_cvt_u32_f32_e32 v2, v2
	v_mul_lo_u32 v3, s4, v2
	s_delay_alu instid0(VALU_DEP_1) | instskip(NEXT) | instid1(VALU_DEP_1)
	v_mul_hi_u32 v3, v2, v3
	v_add_nc_u32_e32 v2, v2, v3
	s_delay_alu instid0(VALU_DEP_1) | instskip(NEXT) | instid1(VALU_DEP_1)
	v_mul_hi_u32 v2, v0, v2
	v_mul_lo_u32 v3, v2, s10
	s_delay_alu instid0(VALU_DEP_1) | instskip(NEXT) | instid1(VALU_DEP_1)
	v_dual_add_nc_u32 v7, 1, v2 :: v_dual_sub_nc_u32 v3, v0, v3
	v_subrev_nc_u32_e32 v8, s10, v3
	v_cmp_le_u32_e32 vcc_lo, s10, v3
	s_delay_alu instid0(VALU_DEP_2) | instskip(NEXT) | instid1(VALU_DEP_1)
	v_dual_cndmask_b32 v3, v3, v8 :: v_dual_cndmask_b32 v2, v2, v7
	v_cmp_le_u32_e32 vcc_lo, s10, v3
	s_delay_alu instid0(VALU_DEP_2) | instskip(NEXT) | instid1(VALU_DEP_1)
	v_add_nc_u32_e32 v7, 1, v2
	v_cndmask_b32_e32 v8, v2, v7, vcc_lo
.LBB44_13:
	s_or_b32 exec_lo, exec_lo, s2
	v_mul_u64_e32 v[2:3], s[8:9], v[4:5]
	s_clause 0x1
	s_load_b128 s[20:23], s[0:1], 0xb0
	s_load_b512 s[4:19], s[0:1], 0x18
	s_bfe_u32 s2, ttmp6, 0x40014
	s_wait_kmcnt 0x0
	s_bfe_u32 s7, ttmp6, 0x40010
	s_lshr_b32 s24, ttmp7, 16
	s_and_b32 s5, ttmp7, 0xffff
	s_add_co_i32 s2, s2, 1
	s_add_co_i32 s7, s7, 1
	s_bfe_u32 s25, ttmp6, 0x40008
	s_bfe_u32 s9, ttmp6, 0x40004
	s_mul_i32 s2, s24, s2
	s_mul_i32 s7, s5, s7
	s_add_co_i32 s25, s25, s2
	s_add_co_i32 s9, s9, s7
	s_cmp_eq_u32 s3, 0
	s_load_b64 s[2:3], s[0:1], 0xa8
	s_cselect_b32 s7, s5, s9
	s_cselect_b32 s9, s24, s25
	v_dual_ashrrev_i32 v9, 31, v8 :: v_dual_ashrrev_i32 v7, 31, v6
	s_sub_co_i32 s25, 0, s20
	s_add_co_i32 s4, s20, s4
	s_sub_co_i32 s24, 0, s21
	s_add_co_i32 s4, s4, -1
	s_max_i32 s28, s20, 0
	v_maxmin_i32 v4, s20, v8, s4
	s_add_co_i32 s6, s21, s6
	s_max_i32 s25, s25, 0
	s_max_i32 s27, s21, 0
	;; [unrolled: 1-line block ×3, first 2 shown]
	s_add_co_i32 s4, s22, s8
	v_sub_nc_u64_e32 v[0:1], v[0:1], v[2:3]
	s_add_co_i32 s6, s6, -1
	s_sub_co_i32 s8, s25, s28
	v_maxmin_i32 v3, s21, v6, s6
	s_sub_co_i32 s6, s24, s27
	v_add_nc_u32_e32 v2, s8, v4
	s_sub_co_i32 s5, 0, s22
	s_max_i32 s26, s22, 0
	s_max_i32 s5, s5, 0
	s_add_co_i32 s4, s4, -1
	v_add_nc_u32_e32 v4, s6, v3
	v_maxmin_i32 v5, s22, v0, s4
	s_sub_co_i32 s4, s5, s26
	v_ashrrev_i32_e32 v3, 31, v2
	s_load_b32 s6, s[0:1], 0xc0
	s_delay_alu instid0(VALU_DEP_2) | instskip(NEXT) | instid1(VALU_DEP_2)
	v_dual_add_nc_u32 v10, s4, v5 :: v_dual_ashrrev_i32 v5, 31, v4
	v_mul_u64_e32 v[2:3], s[14:15], v[2:3]
	s_load_b64 s[4:5], s[0:1], 0x0
	s_wait_kmcnt 0x0
	v_mul_u64_e32 v[0:1], s[2:3], v[0:1]
	v_ashrrev_i32_e32 v11, 31, v10
	v_mul_u64_e32 v[4:5], s[16:17], v[4:5]
	s_add_co_i32 s16, s23, s7
	s_delay_alu instid0(SALU_CYCLE_1) | instskip(NEXT) | instid1(VALU_DEP_2)
	s_ashr_i32 s17, s16, 31
	v_mul_u64_e32 v[10:11], s[18:19], v[10:11]
	s_add_co_i32 s14, s6, s9
	s_mul_u64 s[8:9], s[12:13], s[16:17]
	s_ashr_i32 s15, s14, 31
	s_delay_alu instid0(SALU_CYCLE_1) | instskip(NEXT) | instid1(SALU_CYCLE_1)
	s_mul_u64 s[6:7], s[10:11], s[14:15]
	s_lshl_b64 s[6:7], s[6:7], 1
	s_delay_alu instid0(SALU_CYCLE_1) | instskip(SKIP_1) | instid1(SALU_CYCLE_1)
	s_add_nc_u64 s[4:5], s[4:5], s[6:7]
	s_lshl_b64 s[6:7], s[8:9], 1
	s_add_nc_u64 s[4:5], s[4:5], s[6:7]
	s_delay_alu instid0(SALU_CYCLE_1) | instskip(SKIP_1) | instid1(VALU_DEP_1)
	v_lshl_add_u64 v[2:3], v[2:3], 1, s[4:5]
	s_load_b256 s[4:11], s[0:1], 0x88
	v_lshl_add_u64 v[2:3], v[4:5], 1, v[2:3]
	s_wait_xcnt 0x0
	s_load_b64 s[0:1], s[0:1], 0x58
	s_delay_alu instid0(VALU_DEP_1)
	v_lshl_add_u64 v[2:3], v[10:11], 1, v[2:3]
	global_load_u16 v10, v[2:3], off
	s_wait_kmcnt 0x0
	v_mul_u64_e32 v[2:3], s[8:9], v[8:9]
	v_mul_u64_e32 v[4:5], s[10:11], v[6:7]
	s_mul_u64 s[2:3], s[4:5], s[14:15]
	s_mul_u64 s[4:5], s[6:7], s[16:17]
	s_lshl_b64 s[2:3], s[2:3], 1
	s_delay_alu instid0(SALU_CYCLE_1) | instskip(SKIP_1) | instid1(SALU_CYCLE_1)
	s_add_nc_u64 s[0:1], s[0:1], s[2:3]
	s_lshl_b64 s[2:3], s[4:5], 1
	s_add_nc_u64 s[0:1], s[0:1], s[2:3]
	s_delay_alu instid0(VALU_DEP_2) | instid1(SALU_CYCLE_1)
	v_lshl_add_u64 v[2:3], v[2:3], 1, s[0:1]
	s_delay_alu instid0(VALU_DEP_1) | instskip(NEXT) | instid1(VALU_DEP_1)
	v_lshl_add_u64 v[2:3], v[4:5], 1, v[2:3]
	v_lshl_add_u64 v[0:1], v[0:1], 1, v[2:3]
	s_wait_loadcnt 0x0
	global_store_b16 v[0:1], v10, off
.LBB44_14:
	s_endpgm
	.section	.rodata,"a",@progbits
	.p2align	6, 0x0
	.amdhsa_kernel _ZN2at6native12_GLOBAL__N_132replication_pad_forward_kernel3dIsEEvN5torch10headeronly6detail27GenericPackedTensorAccessorINS5_14TensorAccessorIN3c108ArrayRefIlEEKT_Lm4ENS4_16DefaultPtrTraitsElEENS_6detail16IndexBoundsCheckILm5ElEESC_Lm5ESD_lEENS6_INS7_ISA_SB_Lm4ESD_lEESH_SB_Lm5ESD_lEEiiiii
		.amdhsa_group_segment_fixed_size 0
		.amdhsa_private_segment_fixed_size 0
		.amdhsa_kernarg_size 456
		.amdhsa_user_sgpr_count 2
		.amdhsa_user_sgpr_dispatch_ptr 0
		.amdhsa_user_sgpr_queue_ptr 0
		.amdhsa_user_sgpr_kernarg_segment_ptr 1
		.amdhsa_user_sgpr_dispatch_id 0
		.amdhsa_user_sgpr_kernarg_preload_length 0
		.amdhsa_user_sgpr_kernarg_preload_offset 0
		.amdhsa_user_sgpr_private_segment_size 0
		.amdhsa_wavefront_size32 1
		.amdhsa_uses_dynamic_stack 0
		.amdhsa_enable_private_segment 0
		.amdhsa_system_sgpr_workgroup_id_x 1
		.amdhsa_system_sgpr_workgroup_id_y 1
		.amdhsa_system_sgpr_workgroup_id_z 1
		.amdhsa_system_sgpr_workgroup_info 0
		.amdhsa_system_vgpr_workitem_id 0
		.amdhsa_next_free_vgpr 22
		.amdhsa_next_free_sgpr 29
		.amdhsa_named_barrier_count 0
		.amdhsa_reserve_vcc 1
		.amdhsa_float_round_mode_32 0
		.amdhsa_float_round_mode_16_64 0
		.amdhsa_float_denorm_mode_32 3
		.amdhsa_float_denorm_mode_16_64 3
		.amdhsa_fp16_overflow 0
		.amdhsa_memory_ordered 1
		.amdhsa_forward_progress 1
		.amdhsa_inst_pref_size 23
		.amdhsa_round_robin_scheduling 0
		.amdhsa_exception_fp_ieee_invalid_op 0
		.amdhsa_exception_fp_denorm_src 0
		.amdhsa_exception_fp_ieee_div_zero 0
		.amdhsa_exception_fp_ieee_overflow 0
		.amdhsa_exception_fp_ieee_underflow 0
		.amdhsa_exception_fp_ieee_inexact 0
		.amdhsa_exception_int_div_zero 0
	.end_amdhsa_kernel
	.section	.text._ZN2at6native12_GLOBAL__N_132replication_pad_forward_kernel3dIsEEvN5torch10headeronly6detail27GenericPackedTensorAccessorINS5_14TensorAccessorIN3c108ArrayRefIlEEKT_Lm4ENS4_16DefaultPtrTraitsElEENS_6detail16IndexBoundsCheckILm5ElEESC_Lm5ESD_lEENS6_INS7_ISA_SB_Lm4ESD_lEESH_SB_Lm5ESD_lEEiiiii,"axG",@progbits,_ZN2at6native12_GLOBAL__N_132replication_pad_forward_kernel3dIsEEvN5torch10headeronly6detail27GenericPackedTensorAccessorINS5_14TensorAccessorIN3c108ArrayRefIlEEKT_Lm4ENS4_16DefaultPtrTraitsElEENS_6detail16IndexBoundsCheckILm5ElEESC_Lm5ESD_lEENS6_INS7_ISA_SB_Lm4ESD_lEESH_SB_Lm5ESD_lEEiiiii,comdat
.Lfunc_end44:
	.size	_ZN2at6native12_GLOBAL__N_132replication_pad_forward_kernel3dIsEEvN5torch10headeronly6detail27GenericPackedTensorAccessorINS5_14TensorAccessorIN3c108ArrayRefIlEEKT_Lm4ENS4_16DefaultPtrTraitsElEENS_6detail16IndexBoundsCheckILm5ElEESC_Lm5ESD_lEENS6_INS7_ISA_SB_Lm4ESD_lEESH_SB_Lm5ESD_lEEiiiii, .Lfunc_end44-_ZN2at6native12_GLOBAL__N_132replication_pad_forward_kernel3dIsEEvN5torch10headeronly6detail27GenericPackedTensorAccessorINS5_14TensorAccessorIN3c108ArrayRefIlEEKT_Lm4ENS4_16DefaultPtrTraitsElEENS_6detail16IndexBoundsCheckILm5ElEESC_Lm5ESD_lEENS6_INS7_ISA_SB_Lm4ESD_lEESH_SB_Lm5ESD_lEEiiiii
                                        ; -- End function
	.set _ZN2at6native12_GLOBAL__N_132replication_pad_forward_kernel3dIsEEvN5torch10headeronly6detail27GenericPackedTensorAccessorINS5_14TensorAccessorIN3c108ArrayRefIlEEKT_Lm4ENS4_16DefaultPtrTraitsElEENS_6detail16IndexBoundsCheckILm5ElEESC_Lm5ESD_lEENS6_INS7_ISA_SB_Lm4ESD_lEESH_SB_Lm5ESD_lEEiiiii.num_vgpr, 22
	.set _ZN2at6native12_GLOBAL__N_132replication_pad_forward_kernel3dIsEEvN5torch10headeronly6detail27GenericPackedTensorAccessorINS5_14TensorAccessorIN3c108ArrayRefIlEEKT_Lm4ENS4_16DefaultPtrTraitsElEENS_6detail16IndexBoundsCheckILm5ElEESC_Lm5ESD_lEENS6_INS7_ISA_SB_Lm4ESD_lEESH_SB_Lm5ESD_lEEiiiii.num_agpr, 0
	.set _ZN2at6native12_GLOBAL__N_132replication_pad_forward_kernel3dIsEEvN5torch10headeronly6detail27GenericPackedTensorAccessorINS5_14TensorAccessorIN3c108ArrayRefIlEEKT_Lm4ENS4_16DefaultPtrTraitsElEENS_6detail16IndexBoundsCheckILm5ElEESC_Lm5ESD_lEENS6_INS7_ISA_SB_Lm4ESD_lEESH_SB_Lm5ESD_lEEiiiii.numbered_sgpr, 29
	.set _ZN2at6native12_GLOBAL__N_132replication_pad_forward_kernel3dIsEEvN5torch10headeronly6detail27GenericPackedTensorAccessorINS5_14TensorAccessorIN3c108ArrayRefIlEEKT_Lm4ENS4_16DefaultPtrTraitsElEENS_6detail16IndexBoundsCheckILm5ElEESC_Lm5ESD_lEENS6_INS7_ISA_SB_Lm4ESD_lEESH_SB_Lm5ESD_lEEiiiii.num_named_barrier, 0
	.set _ZN2at6native12_GLOBAL__N_132replication_pad_forward_kernel3dIsEEvN5torch10headeronly6detail27GenericPackedTensorAccessorINS5_14TensorAccessorIN3c108ArrayRefIlEEKT_Lm4ENS4_16DefaultPtrTraitsElEENS_6detail16IndexBoundsCheckILm5ElEESC_Lm5ESD_lEENS6_INS7_ISA_SB_Lm4ESD_lEESH_SB_Lm5ESD_lEEiiiii.private_seg_size, 0
	.set _ZN2at6native12_GLOBAL__N_132replication_pad_forward_kernel3dIsEEvN5torch10headeronly6detail27GenericPackedTensorAccessorINS5_14TensorAccessorIN3c108ArrayRefIlEEKT_Lm4ENS4_16DefaultPtrTraitsElEENS_6detail16IndexBoundsCheckILm5ElEESC_Lm5ESD_lEENS6_INS7_ISA_SB_Lm4ESD_lEESH_SB_Lm5ESD_lEEiiiii.uses_vcc, 1
	.set _ZN2at6native12_GLOBAL__N_132replication_pad_forward_kernel3dIsEEvN5torch10headeronly6detail27GenericPackedTensorAccessorINS5_14TensorAccessorIN3c108ArrayRefIlEEKT_Lm4ENS4_16DefaultPtrTraitsElEENS_6detail16IndexBoundsCheckILm5ElEESC_Lm5ESD_lEENS6_INS7_ISA_SB_Lm4ESD_lEESH_SB_Lm5ESD_lEEiiiii.uses_flat_scratch, 0
	.set _ZN2at6native12_GLOBAL__N_132replication_pad_forward_kernel3dIsEEvN5torch10headeronly6detail27GenericPackedTensorAccessorINS5_14TensorAccessorIN3c108ArrayRefIlEEKT_Lm4ENS4_16DefaultPtrTraitsElEENS_6detail16IndexBoundsCheckILm5ElEESC_Lm5ESD_lEENS6_INS7_ISA_SB_Lm4ESD_lEESH_SB_Lm5ESD_lEEiiiii.has_dyn_sized_stack, 0
	.set _ZN2at6native12_GLOBAL__N_132replication_pad_forward_kernel3dIsEEvN5torch10headeronly6detail27GenericPackedTensorAccessorINS5_14TensorAccessorIN3c108ArrayRefIlEEKT_Lm4ENS4_16DefaultPtrTraitsElEENS_6detail16IndexBoundsCheckILm5ElEESC_Lm5ESD_lEENS6_INS7_ISA_SB_Lm4ESD_lEESH_SB_Lm5ESD_lEEiiiii.has_recursion, 0
	.set _ZN2at6native12_GLOBAL__N_132replication_pad_forward_kernel3dIsEEvN5torch10headeronly6detail27GenericPackedTensorAccessorINS5_14TensorAccessorIN3c108ArrayRefIlEEKT_Lm4ENS4_16DefaultPtrTraitsElEENS_6detail16IndexBoundsCheckILm5ElEESC_Lm5ESD_lEENS6_INS7_ISA_SB_Lm4ESD_lEESH_SB_Lm5ESD_lEEiiiii.has_indirect_call, 0
	.section	.AMDGPU.csdata,"",@progbits
; Kernel info:
; codeLenInByte = 2900
; TotalNumSgprs: 31
; NumVgprs: 22
; ScratchSize: 0
; MemoryBound: 0
; FloatMode: 240
; IeeeMode: 1
; LDSByteSize: 0 bytes/workgroup (compile time only)
; SGPRBlocks: 0
; VGPRBlocks: 1
; NumSGPRsForWavesPerEU: 31
; NumVGPRsForWavesPerEU: 22
; NamedBarCnt: 0
; Occupancy: 16
; WaveLimiterHint : 1
; COMPUTE_PGM_RSRC2:SCRATCH_EN: 0
; COMPUTE_PGM_RSRC2:USER_SGPR: 2
; COMPUTE_PGM_RSRC2:TRAP_HANDLER: 0
; COMPUTE_PGM_RSRC2:TGID_X_EN: 1
; COMPUTE_PGM_RSRC2:TGID_Y_EN: 1
; COMPUTE_PGM_RSRC2:TGID_Z_EN: 1
; COMPUTE_PGM_RSRC2:TIDIG_COMP_CNT: 0
	.section	.text._ZN2at6native12_GLOBAL__N_132replication_pad_forward_kernel3dIdEEvN5torch10headeronly6detail27GenericPackedTensorAccessorINS5_14TensorAccessorIN3c108ArrayRefIlEEKT_Lm4ENS4_16DefaultPtrTraitsElEENS_6detail16IndexBoundsCheckILm5ElEESC_Lm5ESD_lEENS6_INS7_ISA_SB_Lm4ESD_lEESH_SB_Lm5ESD_lEEiiiii,"axG",@progbits,_ZN2at6native12_GLOBAL__N_132replication_pad_forward_kernel3dIdEEvN5torch10headeronly6detail27GenericPackedTensorAccessorINS5_14TensorAccessorIN3c108ArrayRefIlEEKT_Lm4ENS4_16DefaultPtrTraitsElEENS_6detail16IndexBoundsCheckILm5ElEESC_Lm5ESD_lEENS6_INS7_ISA_SB_Lm4ESD_lEESH_SB_Lm5ESD_lEEiiiii,comdat
	.globl	_ZN2at6native12_GLOBAL__N_132replication_pad_forward_kernel3dIdEEvN5torch10headeronly6detail27GenericPackedTensorAccessorINS5_14TensorAccessorIN3c108ArrayRefIlEEKT_Lm4ENS4_16DefaultPtrTraitsElEENS_6detail16IndexBoundsCheckILm5ElEESC_Lm5ESD_lEENS6_INS7_ISA_SB_Lm4ESD_lEESH_SB_Lm5ESD_lEEiiiii ; -- Begin function _ZN2at6native12_GLOBAL__N_132replication_pad_forward_kernel3dIdEEvN5torch10headeronly6detail27GenericPackedTensorAccessorINS5_14TensorAccessorIN3c108ArrayRefIlEEKT_Lm4ENS4_16DefaultPtrTraitsElEENS_6detail16IndexBoundsCheckILm5ElEESC_Lm5ESD_lEENS6_INS7_ISA_SB_Lm4ESD_lEESH_SB_Lm5ESD_lEEiiiii
	.p2align	8
	.type	_ZN2at6native12_GLOBAL__N_132replication_pad_forward_kernel3dIdEEvN5torch10headeronly6detail27GenericPackedTensorAccessorINS5_14TensorAccessorIN3c108ArrayRefIlEEKT_Lm4ENS4_16DefaultPtrTraitsElEENS_6detail16IndexBoundsCheckILm5ElEESC_Lm5ESD_lEENS6_INS7_ISA_SB_Lm4ESD_lEESH_SB_Lm5ESD_lEEiiiii,@function
_ZN2at6native12_GLOBAL__N_132replication_pad_forward_kernel3dIdEEvN5torch10headeronly6detail27GenericPackedTensorAccessorINS5_14TensorAccessorIN3c108ArrayRefIlEEKT_Lm4ENS4_16DefaultPtrTraitsElEENS_6detail16IndexBoundsCheckILm5ElEESC_Lm5ESD_lEENS6_INS7_ISA_SB_Lm4ESD_lEESH_SB_Lm5ESD_lEEiiiii: ; @_ZN2at6native12_GLOBAL__N_132replication_pad_forward_kernel3dIdEEvN5torch10headeronly6detail27GenericPackedTensorAccessorINS5_14TensorAccessorIN3c108ArrayRefIlEEKT_Lm4ENS4_16DefaultPtrTraitsElEENS_6detail16IndexBoundsCheckILm5ElEESC_Lm5ESD_lEENS6_INS7_ISA_SB_Lm4ESD_lEESH_SB_Lm5ESD_lEEiiiii
; %bb.0:
	s_load_b32 s2, s[0:1], 0xd4
	s_bfe_u32 s4, ttmp6, 0x4000c
	s_and_b32 s10, ttmp6, 15
	s_add_co_i32 s11, s4, 1
	s_clause 0x1
	s_load_b128 s[4:7], s[0:1], 0x70
	s_load_b64 s[8:9], s[0:1], 0x80
	s_mul_i32 s11, ttmp9, s11
	s_getreg_b32 s3, hwreg(HW_REG_IB_STS2, 6, 4)
	s_add_co_i32 s10, s10, s11
	s_wait_kmcnt 0x0
	s_and_b32 s2, s2, 0xffff
	s_cmp_eq_u32 s3, 0
	s_cselect_b32 s10, ttmp9, s10
	s_delay_alu instid0(SALU_CYCLE_1) | instskip(SKIP_3) | instid1(VALU_DEP_1)
	v_mad_u32 v0, s10, s2, v0
	s_mul_u64 s[10:11], s[8:9], s[6:7]
	s_mov_b32 s2, exec_lo
	s_mul_u64 s[4:5], s[10:11], s[4:5]
	v_ashrrev_i32_e32 v1, 31, v0
	s_delay_alu instid0(VALU_DEP_1)
	v_cmpx_gt_i64_e64 s[4:5], v[0:1]
	s_cbranch_execz .LBB45_14
; %bb.1:
	v_dual_mov_b32 v6, 0 :: v_dual_bitop2_b32 v7, s9, v1 bitop3:0x54
	v_ashrrev_i32_e32 v2, 31, v1
                                        ; implicit-def: $vgpr4_vgpr5
	s_mov_b32 s2, exec_lo
	s_delay_alu instid0(VALU_DEP_2)
	v_cmpx_ne_u64_e32 0, v[6:7]
	s_xor_b32 s14, exec_lo, s2
	s_cbranch_execz .LBB45_3
; %bb.2:
	s_ashr_i32 s4, s9, 31
	s_mov_b32 s23, 0
	s_mov_b32 s5, s4
	v_dual_mov_b32 v3, v2 :: v_dual_mov_b32 v9, v6
	s_add_nc_u64 s[12:13], s[8:9], s[4:5]
	v_mov_b32_e32 v7, v6
	s_xor_b64 s[12:13], s[12:13], s[4:5]
	s_delay_alu instid0(VALU_DEP_2) | instskip(SKIP_4) | instid1(SALU_CYCLE_1)
	v_add_nc_u64_e32 v[4:5], v[0:1], v[2:3]
	s_cvt_f32_u32 s2, s12
	s_cvt_f32_u32 s5, s13
	s_sub_nc_u64 s[18:19], 0, s[12:13]
	v_dual_mov_b32 v11, v6 :: v_dual_mov_b32 v17, v6
	s_fmamk_f32 s2, s5, 0x4f800000, s2
	s_delay_alu instid0(VALU_DEP_2) | instskip(SKIP_1) | instid1(SALU_CYCLE_1)
	v_xor_b32_e32 v8, v4, v2
	v_xor_b32_e32 v10, v5, v2
	v_s_rcp_f32 s2, s2
	s_delay_alu instid0(TRANS32_DEP_1) | instskip(NEXT) | instid1(SALU_CYCLE_3)
	s_mul_f32 s2, s2, 0x5f7ffffc
	s_mul_f32 s5, s2, 0x2f800000
	s_delay_alu instid0(SALU_CYCLE_3) | instskip(NEXT) | instid1(SALU_CYCLE_3)
	s_trunc_f32 s5, s5
	s_fmamk_f32 s2, s5, 0xcf800000, s2
	s_cvt_u32_f32 s17, s5
	s_delay_alu instid0(SALU_CYCLE_2) | instskip(NEXT) | instid1(SALU_CYCLE_3)
	s_cvt_u32_f32 s16, s2
	s_mul_u64 s[20:21], s[18:19], s[16:17]
	s_delay_alu instid0(SALU_CYCLE_1)
	s_mul_hi_u32 s25, s16, s21
	s_mul_i32 s24, s16, s21
	s_mul_hi_u32 s22, s16, s20
	s_mul_i32 s5, s17, s20
	s_add_nc_u64 s[24:25], s[22:23], s[24:25]
	s_mul_hi_u32 s2, s17, s20
	s_mul_hi_u32 s15, s17, s21
	s_add_co_u32 s5, s24, s5
	s_add_co_ci_u32 s22, s25, s2
	s_mul_i32 s20, s17, s21
	s_add_co_ci_u32 s21, s15, 0
	s_delay_alu instid0(SALU_CYCLE_1) | instskip(NEXT) | instid1(SALU_CYCLE_1)
	s_add_nc_u64 s[20:21], s[22:23], s[20:21]
	s_add_co_u32 s16, s16, s20
	s_cselect_b32 s2, -1, 0
	s_delay_alu instid0(SALU_CYCLE_1) | instskip(SKIP_1) | instid1(SALU_CYCLE_1)
	s_cmp_lg_u32 s2, 0
	s_add_co_ci_u32 s17, s17, s21
	s_mul_u64 s[18:19], s[18:19], s[16:17]
	s_delay_alu instid0(SALU_CYCLE_1)
	s_mul_hi_u32 s21, s16, s19
	s_mul_i32 s20, s16, s19
	s_mul_hi_u32 s22, s16, s18
	s_mul_i32 s5, s17, s18
	s_add_nc_u64 s[20:21], s[22:23], s[20:21]
	s_mul_hi_u32 s2, s17, s18
	s_mul_hi_u32 s15, s17, s19
	s_add_co_u32 s5, s20, s5
	s_add_co_ci_u32 s22, s21, s2
	s_mul_i32 s18, s17, s19
	s_add_co_ci_u32 s19, s15, 0
	s_delay_alu instid0(SALU_CYCLE_1) | instskip(NEXT) | instid1(SALU_CYCLE_1)
	s_add_nc_u64 s[18:19], s[22:23], s[18:19]
	s_add_co_u32 s2, s16, s18
	s_cselect_b32 s5, -1, 0
	v_nop
	v_mul_hi_u32 v16, v8, s2
	s_cmp_lg_u32 s5, 0
	s_add_co_ci_u32 s22, s17, s19
	s_mov_b64 s[16:17], 0xffffffff
	v_mul_u64_e32 v[12:13], s[22:23], v[8:9]
	s_and_b64 s[16:17], s[2:3], s[16:17]
	v_mul_u64_e32 v[14:15], s[22:23], v[10:11]
	v_mul_u64_e32 v[4:5], s[16:17], v[10:11]
	s_delay_alu instid0(VALU_DEP_3) | instskip(NEXT) | instid1(VALU_DEP_1)
	v_add_nc_u64_e32 v[12:13], v[16:17], v[12:13]
	v_add_co_u32 v3, vcc_lo, v12, v4
	s_delay_alu instid0(VALU_DEP_2) | instskip(SKIP_1) | instid1(VALU_DEP_1)
	v_add_co_ci_u32_e32 v6, vcc_lo, v13, v5, vcc_lo
	v_add_co_ci_u32_e32 v15, vcc_lo, 0, v15, vcc_lo
	v_add_nc_u64_e32 v[4:5], v[6:7], v[14:15]
	s_delay_alu instid0(VALU_DEP_1) | instskip(NEXT) | instid1(VALU_DEP_1)
	v_mul_u64_e32 v[6:7], s[12:13], v[4:5]
	v_sub_nc_u32_e32 v3, v10, v7
	s_delay_alu instid0(VALU_DEP_2) | instskip(NEXT) | instid1(VALU_DEP_1)
	v_sub_co_u32 v6, vcc_lo, v8, v6
	v_sub_co_ci_u32_e64 v10, null, v10, v7, vcc_lo
	s_delay_alu instid0(VALU_DEP_3) | instskip(NEXT) | instid1(VALU_DEP_3)
	v_subrev_co_ci_u32_e64 v3, null, s13, v3, vcc_lo
	v_sub_co_u32 v8, s2, v6, s12
	s_delay_alu instid0(VALU_DEP_1) | instskip(NEXT) | instid1(VALU_DEP_2)
	v_subrev_co_ci_u32_e64 v3, null, 0, v3, s2
	v_cmp_le_u32_e32 vcc_lo, s12, v8
	v_cndmask_b32_e64 v7, 0, -1, vcc_lo
	s_delay_alu instid0(VALU_DEP_3)
	v_cmp_le_u32_e32 vcc_lo, s13, v3
	v_cndmask_b32_e64 v8, 0, -1, vcc_lo
	v_cmp_le_u32_e32 vcc_lo, s12, v6
	v_cndmask_b32_e64 v11, 0, -1, vcc_lo
	v_cmp_le_u32_e32 vcc_lo, s13, v10
	v_cndmask_b32_e64 v12, 0, -1, vcc_lo
	v_cmp_eq_u32_e32 vcc_lo, s13, v3
	v_cndmask_b32_e32 v3, v8, v7, vcc_lo
	v_cmp_eq_u32_e32 vcc_lo, s13, v10
	v_add_nc_u64_e32 v[6:7], 2, v[4:5]
	v_add_nc_u64_e32 v[8:9], 1, v[4:5]
	v_cndmask_b32_e32 v10, v12, v11, vcc_lo
	v_cmp_ne_u32_e32 vcc_lo, 0, v3
	s_delay_alu instid0(VALU_DEP_2) | instskip(NEXT) | instid1(VALU_DEP_4)
	v_cmp_ne_u32_e64 s2, 0, v10
	v_dual_cndmask_b32 v3, v9, v7, vcc_lo :: v_dual_cndmask_b32 v7, v8, v6, vcc_lo
	s_delay_alu instid0(VALU_DEP_1) | instskip(NEXT) | instid1(VALU_DEP_1)
	v_dual_cndmask_b32 v4, v4, v7, s2 :: v_dual_bitop2_b32 v6, s4, v2 bitop3:0x14
	v_dual_cndmask_b32 v3, v5, v3, s2 :: v_dual_mov_b32 v7, v6
	s_delay_alu instid0(VALU_DEP_2) | instskip(NEXT) | instid1(VALU_DEP_2)
	v_xor_b32_e32 v4, v4, v6
	v_xor_b32_e32 v5, v3, v6
	s_delay_alu instid0(VALU_DEP_1)
	v_sub_nc_u64_e32 v[4:5], v[4:5], v[6:7]
.LBB45_3:
	s_and_not1_saveexec_b32 s2, s14
	s_cbranch_execz .LBB45_5
; %bb.4:
	v_cvt_f32_u32_e32 v3, s8
	s_sub_co_i32 s4, 0, s8
	s_delay_alu instid0(VALU_DEP_1) | instskip(SKIP_1) | instid1(TRANS32_DEP_1)
	v_rcp_iflag_f32_e32 v3, v3
	v_nop
	v_mul_f32_e32 v3, 0x4f7ffffe, v3
	s_delay_alu instid0(VALU_DEP_1) | instskip(NEXT) | instid1(VALU_DEP_1)
	v_cvt_u32_f32_e32 v3, v3
	v_mul_lo_u32 v4, s4, v3
	s_delay_alu instid0(VALU_DEP_1) | instskip(NEXT) | instid1(VALU_DEP_1)
	v_mul_hi_u32 v4, v3, v4
	v_add_nc_u32_e32 v3, v3, v4
	s_delay_alu instid0(VALU_DEP_1) | instskip(NEXT) | instid1(VALU_DEP_1)
	v_mul_hi_u32 v3, v0, v3
	v_mul_lo_u32 v4, v3, s8
	s_delay_alu instid0(VALU_DEP_1) | instskip(NEXT) | instid1(VALU_DEP_1)
	v_dual_add_nc_u32 v5, 1, v3 :: v_dual_sub_nc_u32 v4, v0, v4
	v_subrev_nc_u32_e32 v6, s8, v4
	v_cmp_le_u32_e32 vcc_lo, s8, v4
	s_delay_alu instid0(VALU_DEP_2) | instskip(NEXT) | instid1(VALU_DEP_1)
	v_dual_cndmask_b32 v4, v4, v6 :: v_dual_cndmask_b32 v3, v3, v5
	v_cmp_le_u32_e32 vcc_lo, s8, v4
	s_delay_alu instid0(VALU_DEP_2) | instskip(NEXT) | instid1(VALU_DEP_1)
	v_add_nc_u32_e32 v5, 1, v3
	v_dual_cndmask_b32 v4, v3, v5 :: v_dual_mov_b32 v5, 0
.LBB45_5:
	s_or_b32 exec_lo, exec_lo, s2
	s_delay_alu instid0(VALU_DEP_1) | instskip(SKIP_1) | instid1(VALU_DEP_1)
	v_dual_mov_b32 v8, 0 :: v_dual_bitop2_b32 v9, s7, v5 bitop3:0x54
                                        ; implicit-def: $vgpr6_vgpr7
	s_mov_b32 s2, exec_lo
	v_cmpx_ne_u64_e32 0, v[8:9]
	s_xor_b32 s12, exec_lo, s2
	s_cbranch_execz .LBB45_7
; %bb.6:
	s_ashr_i32 s4, s7, 31
	s_mov_b32 s21, 0
	s_mov_b32 s5, s4
	v_dual_mov_b32 v13, v8 :: v_dual_ashrrev_i32 v6, 31, v5
	s_add_nc_u64 s[14:15], s[6:7], s[4:5]
	v_mov_b32_e32 v15, v8
	s_xor_b64 s[4:5], s[14:15], s[4:5]
	s_delay_alu instid0(VALU_DEP_2)
	v_mov_b32_e32 v7, v6
	s_cvt_f32_u32 s2, s4
	s_cvt_f32_u32 s7, s5
	s_sub_nc_u64 s[16:17], 0, s[4:5]
	v_mov_b32_e32 v21, v8
	v_add_nc_u64_e32 v[10:11], v[4:5], v[6:7]
	s_fmamk_f32 s2, s7, 0x4f800000, s2
	v_mov_b32_e32 v9, v8
	s_delay_alu instid0(SALU_CYCLE_2) | instskip(NEXT) | instid1(VALU_DEP_2)
	v_s_rcp_f32 s2, s2
	v_xor_b32_e32 v12, v10, v6
	s_delay_alu instid0(VALU_DEP_3) | instskip(NEXT) | instid1(TRANS32_DEP_1)
	v_xor_b32_e32 v14, v11, v6
	s_mul_f32 s2, s2, 0x5f7ffffc
	s_delay_alu instid0(SALU_CYCLE_3) | instskip(NEXT) | instid1(SALU_CYCLE_3)
	s_mul_f32 s7, s2, 0x2f800000
	s_trunc_f32 s7, s7
	s_delay_alu instid0(SALU_CYCLE_3) | instskip(SKIP_1) | instid1(SALU_CYCLE_2)
	s_fmamk_f32 s2, s7, 0xcf800000, s2
	s_cvt_u32_f32 s15, s7
	s_cvt_u32_f32 s14, s2
	s_delay_alu instid0(SALU_CYCLE_3) | instskip(NEXT) | instid1(SALU_CYCLE_1)
	s_mul_u64 s[18:19], s[16:17], s[14:15]
	s_mul_hi_u32 s23, s14, s19
	s_mul_i32 s22, s14, s19
	s_mul_hi_u32 s20, s14, s18
	s_mul_i32 s7, s15, s18
	s_add_nc_u64 s[22:23], s[20:21], s[22:23]
	s_mul_hi_u32 s2, s15, s18
	s_mul_hi_u32 s13, s15, s19
	s_add_co_u32 s7, s22, s7
	s_add_co_ci_u32 s20, s23, s2
	s_mul_i32 s18, s15, s19
	s_add_co_ci_u32 s19, s13, 0
	s_delay_alu instid0(SALU_CYCLE_1) | instskip(NEXT) | instid1(SALU_CYCLE_1)
	s_add_nc_u64 s[18:19], s[20:21], s[18:19]
	s_add_co_u32 s14, s14, s18
	s_cselect_b32 s2, -1, 0
	s_delay_alu instid0(SALU_CYCLE_1) | instskip(SKIP_1) | instid1(SALU_CYCLE_1)
	s_cmp_lg_u32 s2, 0
	s_add_co_ci_u32 s15, s15, s19
	s_mul_u64 s[16:17], s[16:17], s[14:15]
	s_delay_alu instid0(SALU_CYCLE_1)
	s_mul_hi_u32 s19, s14, s17
	s_mul_i32 s18, s14, s17
	s_mul_hi_u32 s20, s14, s16
	s_mul_i32 s7, s15, s16
	s_add_nc_u64 s[18:19], s[20:21], s[18:19]
	s_mul_hi_u32 s2, s15, s16
	s_mul_hi_u32 s13, s15, s17
	s_add_co_u32 s7, s18, s7
	s_add_co_ci_u32 s20, s19, s2
	s_mul_i32 s16, s15, s17
	s_add_co_ci_u32 s17, s13, 0
	s_delay_alu instid0(SALU_CYCLE_1) | instskip(NEXT) | instid1(SALU_CYCLE_1)
	s_add_nc_u64 s[16:17], s[20:21], s[16:17]
	s_add_co_u32 s2, s14, s16
	s_cselect_b32 s7, -1, 0
	v_mul_hi_u32 v20, v12, s2
	s_cmp_lg_u32 s7, 0
	s_add_co_ci_u32 s20, s15, s17
	s_mov_b64 s[14:15], 0xffffffff
	v_mul_u64_e32 v[16:17], s[20:21], v[12:13]
	s_and_b64 s[14:15], s[2:3], s[14:15]
	v_mul_u64_e32 v[18:19], s[20:21], v[14:15]
	v_mul_u64_e32 v[10:11], s[14:15], v[14:15]
	s_delay_alu instid0(VALU_DEP_3) | instskip(NEXT) | instid1(VALU_DEP_1)
	v_add_nc_u64_e32 v[16:17], v[20:21], v[16:17]
	v_add_co_u32 v3, vcc_lo, v16, v10
	s_delay_alu instid0(VALU_DEP_2) | instskip(SKIP_1) | instid1(VALU_DEP_1)
	v_add_co_ci_u32_e32 v8, vcc_lo, v17, v11, vcc_lo
	v_add_co_ci_u32_e32 v19, vcc_lo, 0, v19, vcc_lo
	v_add_nc_u64_e32 v[8:9], v[8:9], v[18:19]
	s_delay_alu instid0(VALU_DEP_1) | instskip(NEXT) | instid1(VALU_DEP_1)
	v_mul_u64_e32 v[8:9], s[4:5], v[8:9]
	v_sub_co_u32 v8, vcc_lo, v12, v8
	s_delay_alu instid0(VALU_DEP_1) | instskip(NEXT) | instid1(VALU_DEP_1)
	v_cmp_le_u32_e64 s2, s4, v8
	v_cndmask_b32_e64 v12, 0, -1, s2
	s_delay_alu instid0(VALU_DEP_4) | instskip(SKIP_1) | instid1(VALU_DEP_2)
	v_sub_nc_u32_e32 v3, v14, v9
	v_sub_co_ci_u32_e64 v9, null, v14, v9, vcc_lo
	v_subrev_co_ci_u32_e64 v3, null, s5, v3, vcc_lo
	v_sub_co_u32 v10, vcc_lo, v8, s4
	s_delay_alu instid0(VALU_DEP_1) | instskip(NEXT) | instid1(VALU_DEP_2)
	v_subrev_co_ci_u32_e64 v11, null, 0, v3, vcc_lo
	v_cmp_le_u32_e64 s2, s4, v10
	v_subrev_co_ci_u32_e64 v3, null, s5, v3, vcc_lo
	v_cmp_le_u32_e32 vcc_lo, s5, v9
	s_delay_alu instid0(VALU_DEP_3) | instskip(SKIP_3) | instid1(VALU_DEP_3)
	v_cndmask_b32_e64 v13, 0, -1, s2
	v_cmp_le_u32_e64 s2, s5, v11
	v_cndmask_b32_e64 v15, 0, -1, vcc_lo
	v_cmp_eq_u32_e32 vcc_lo, s5, v11
	v_cndmask_b32_e64 v14, 0, -1, s2
	v_cmp_eq_u32_e64 s2, s5, v9
	s_delay_alu instid0(VALU_DEP_2) | instskip(SKIP_1) | instid1(VALU_DEP_1)
	v_cndmask_b32_e32 v13, v14, v13, vcc_lo
	v_sub_co_u32 v14, vcc_lo, v10, s4
	v_subrev_co_ci_u32_e64 v3, null, 0, v3, vcc_lo
	s_delay_alu instid0(VALU_DEP_3) | instskip(SKIP_1) | instid1(VALU_DEP_3)
	v_cmp_ne_u32_e32 vcc_lo, 0, v13
	v_cndmask_b32_e64 v12, v15, v12, s2
	v_dual_cndmask_b32 v3, v11, v3 :: v_dual_cndmask_b32 v10, v10, v14
	s_delay_alu instid0(VALU_DEP_2) | instskip(NEXT) | instid1(VALU_DEP_2)
	v_cmp_ne_u32_e32 vcc_lo, 0, v12
	v_dual_cndmask_b32 v3, v9, v3 :: v_dual_cndmask_b32 v8, v8, v10
	s_delay_alu instid0(VALU_DEP_1) | instskip(NEXT) | instid1(VALU_DEP_2)
	v_xor_b32_e32 v9, v3, v6
	v_xor_b32_e32 v8, v8, v6
	s_delay_alu instid0(VALU_DEP_1)
	v_sub_nc_u64_e32 v[6:7], v[8:9], v[6:7]
.LBB45_7:
	s_and_not1_saveexec_b32 s2, s12
	s_cbranch_execz .LBB45_9
; %bb.8:
	v_cvt_f32_u32_e32 v3, s6
	s_sub_co_i32 s4, 0, s6
	s_delay_alu instid0(VALU_DEP_1) | instskip(SKIP_1) | instid1(TRANS32_DEP_1)
	v_rcp_iflag_f32_e32 v3, v3
	v_nop
	v_mul_f32_e32 v3, 0x4f7ffffe, v3
	s_delay_alu instid0(VALU_DEP_1) | instskip(NEXT) | instid1(VALU_DEP_1)
	v_cvt_u32_f32_e32 v3, v3
	v_mul_lo_u32 v6, s4, v3
	s_delay_alu instid0(VALU_DEP_1) | instskip(NEXT) | instid1(VALU_DEP_1)
	v_mul_hi_u32 v6, v3, v6
	v_add_nc_u32_e32 v3, v3, v6
	s_delay_alu instid0(VALU_DEP_1) | instskip(NEXT) | instid1(VALU_DEP_1)
	v_mul_hi_u32 v3, v4, v3
	v_mul_lo_u32 v3, v3, s6
	s_delay_alu instid0(VALU_DEP_1) | instskip(NEXT) | instid1(VALU_DEP_1)
	v_sub_nc_u32_e32 v3, v4, v3
	v_subrev_nc_u32_e32 v6, s6, v3
	v_cmp_le_u32_e32 vcc_lo, s6, v3
	s_delay_alu instid0(VALU_DEP_2) | instskip(NEXT) | instid1(VALU_DEP_1)
	v_cndmask_b32_e32 v3, v3, v6, vcc_lo
	v_subrev_nc_u32_e32 v6, s6, v3
	v_cmp_le_u32_e32 vcc_lo, s6, v3
	s_delay_alu instid0(VALU_DEP_2)
	v_cndmask_b32_e32 v6, v3, v6, vcc_lo
.LBB45_9:
	s_or_b32 exec_lo, exec_lo, s2
	v_dual_mov_b32 v10, 0 :: v_dual_bitop2_b32 v11, s11, v1 bitop3:0x54
                                        ; implicit-def: $vgpr8_vgpr9
	s_mov_b32 s2, exec_lo
	s_delay_alu instid0(VALU_DEP_1)
	v_cmpx_ne_u64_e32 0, v[10:11]
	s_xor_b32 s12, exec_lo, s2
	s_cbranch_execz .LBB45_11
; %bb.10:
	s_ashr_i32 s4, s11, 31
	s_mov_b32 s21, 0
	s_mov_b32 s5, s4
	v_dual_mov_b32 v3, v2 :: v_dual_mov_b32 v13, v10
	s_add_nc_u64 s[6:7], s[10:11], s[4:5]
	v_mov_b32_e32 v11, v10
	s_xor_b64 s[6:7], s[6:7], s[4:5]
	s_delay_alu instid0(VALU_DEP_2) | instskip(SKIP_4) | instid1(SALU_CYCLE_1)
	v_add_nc_u64_e32 v[8:9], v[0:1], v[2:3]
	s_cvt_f32_u32 s2, s6
	s_cvt_f32_u32 s5, s7
	s_sub_nc_u64 s[16:17], 0, s[6:7]
	v_dual_mov_b32 v15, v10 :: v_dual_mov_b32 v21, v10
	s_fmamk_f32 s2, s5, 0x4f800000, s2
	s_delay_alu instid0(VALU_DEP_2) | instskip(SKIP_3) | instid1(TRANS32_DEP_1)
	v_xor_b32_e32 v12, v8, v2
	v_xor_b32_e32 v14, v9, v2
	;; [unrolled: 1-line block ×3, first 2 shown]
	v_s_rcp_f32 s2, s2
	s_mul_f32 s2, s2, 0x5f7ffffc
	s_delay_alu instid0(SALU_CYCLE_3) | instskip(NEXT) | instid1(SALU_CYCLE_3)
	s_mul_f32 s5, s2, 0x2f800000
	s_trunc_f32 s5, s5
	s_delay_alu instid0(SALU_CYCLE_3) | instskip(SKIP_1) | instid1(SALU_CYCLE_2)
	s_fmamk_f32 s2, s5, 0xcf800000, s2
	s_cvt_u32_f32 s15, s5
	s_cvt_u32_f32 s14, s2
	s_delay_alu instid0(SALU_CYCLE_3) | instskip(NEXT) | instid1(SALU_CYCLE_1)
	s_mul_u64 s[18:19], s[16:17], s[14:15]
	s_mul_hi_u32 s23, s14, s19
	s_mul_i32 s22, s14, s19
	s_mul_hi_u32 s20, s14, s18
	s_mul_i32 s5, s15, s18
	s_add_nc_u64 s[22:23], s[20:21], s[22:23]
	s_mul_hi_u32 s2, s15, s18
	s_mul_hi_u32 s11, s15, s19
	s_add_co_u32 s5, s22, s5
	s_add_co_ci_u32 s20, s23, s2
	s_mul_i32 s18, s15, s19
	s_add_co_ci_u32 s19, s11, 0
	s_delay_alu instid0(SALU_CYCLE_1) | instskip(NEXT) | instid1(SALU_CYCLE_1)
	s_add_nc_u64 s[18:19], s[20:21], s[18:19]
	s_add_co_u32 s14, s14, s18
	s_cselect_b32 s2, -1, 0
	s_delay_alu instid0(SALU_CYCLE_1) | instskip(SKIP_1) | instid1(SALU_CYCLE_1)
	s_cmp_lg_u32 s2, 0
	s_add_co_ci_u32 s15, s15, s19
	s_mul_u64 s[16:17], s[16:17], s[14:15]
	s_delay_alu instid0(SALU_CYCLE_1)
	s_mul_hi_u32 s19, s14, s17
	s_mul_i32 s18, s14, s17
	s_mul_hi_u32 s20, s14, s16
	s_mul_i32 s5, s15, s16
	s_add_nc_u64 s[18:19], s[20:21], s[18:19]
	s_mul_hi_u32 s2, s15, s16
	s_mul_hi_u32 s11, s15, s17
	s_add_co_u32 s5, s18, s5
	s_add_co_ci_u32 s20, s19, s2
	s_mul_i32 s16, s15, s17
	s_add_co_ci_u32 s17, s11, 0
	s_delay_alu instid0(SALU_CYCLE_1) | instskip(NEXT) | instid1(SALU_CYCLE_1)
	s_add_nc_u64 s[16:17], s[20:21], s[16:17]
	s_add_co_u32 s2, s14, s16
	s_cselect_b32 s5, -1, 0
	v_nop
	v_mul_hi_u32 v20, v12, s2
	s_cmp_lg_u32 s5, 0
	s_add_co_ci_u32 s20, s15, s17
	s_mov_b64 s[14:15], 0xffffffff
	v_mul_u64_e32 v[16:17], s[20:21], v[12:13]
	s_and_b64 s[14:15], s[2:3], s[14:15]
	v_mul_u64_e32 v[18:19], s[20:21], v[14:15]
	v_mul_u64_e32 v[8:9], s[14:15], v[14:15]
	s_delay_alu instid0(VALU_DEP_3) | instskip(NEXT) | instid1(VALU_DEP_1)
	v_add_nc_u64_e32 v[16:17], v[20:21], v[16:17]
	v_add_co_u32 v3, vcc_lo, v16, v8
	s_delay_alu instid0(VALU_DEP_2) | instskip(SKIP_1) | instid1(VALU_DEP_1)
	v_add_co_ci_u32_e32 v10, vcc_lo, v17, v9, vcc_lo
	v_add_co_ci_u32_e32 v19, vcc_lo, 0, v19, vcc_lo
	v_add_nc_u64_e32 v[8:9], v[10:11], v[18:19]
	s_delay_alu instid0(VALU_DEP_1) | instskip(NEXT) | instid1(VALU_DEP_1)
	v_mul_u64_e32 v[10:11], s[6:7], v[8:9]
	v_sub_co_u32 v7, vcc_lo, v12, v10
	v_add_nc_u64_e32 v[12:13], 1, v[8:9]
	s_delay_alu instid0(VALU_DEP_3) | instskip(SKIP_1) | instid1(VALU_DEP_4)
	v_sub_nc_u32_e32 v3, v14, v11
	v_sub_co_ci_u32_e64 v14, null, v14, v11, vcc_lo
	v_sub_co_u32 v10, s2, v7, s6
	s_delay_alu instid0(VALU_DEP_3) | instskip(NEXT) | instid1(VALU_DEP_2)
	v_subrev_co_ci_u32_e64 v3, null, s7, v3, vcc_lo
	v_cmp_le_u32_e32 vcc_lo, s6, v10
	s_delay_alu instid0(VALU_DEP_2) | instskip(SKIP_1) | instid1(VALU_DEP_2)
	v_subrev_co_ci_u32_e64 v3, null, 0, v3, s2
	v_cndmask_b32_e64 v10, 0, -1, vcc_lo
	v_cmp_le_u32_e32 vcc_lo, s7, v3
	v_cndmask_b32_e64 v11, 0, -1, vcc_lo
	v_cmp_le_u32_e32 vcc_lo, s6, v7
	;; [unrolled: 2-line block ×3, first 2 shown]
	v_cndmask_b32_e64 v15, 0, -1, vcc_lo
	v_cmp_eq_u32_e32 vcc_lo, s7, v3
	v_cndmask_b32_e32 v3, v11, v10, vcc_lo
	v_cmp_eq_u32_e32 vcc_lo, s7, v14
	v_add_nc_u64_e32 v[10:11], 2, v[8:9]
	v_cndmask_b32_e32 v7, v15, v7, vcc_lo
	s_delay_alu instid0(VALU_DEP_4) | instskip(NEXT) | instid1(VALU_DEP_2)
	v_cmp_ne_u32_e32 vcc_lo, 0, v3
	v_cmp_ne_u32_e64 s2, 0, v7
	s_delay_alu instid0(VALU_DEP_4) | instskip(NEXT) | instid1(VALU_DEP_1)
	v_dual_cndmask_b32 v3, v13, v11, vcc_lo :: v_dual_cndmask_b32 v7, v12, v10, vcc_lo
	v_dual_cndmask_b32 v9, v9, v3, s2 :: v_dual_mov_b32 v3, v2
	s_delay_alu instid0(VALU_DEP_1) | instskip(NEXT) | instid1(VALU_DEP_1)
	v_dual_cndmask_b32 v7, v8, v7, s2 :: v_dual_bitop2_b32 v9, v9, v2 bitop3:0x14
	v_xor_b32_e32 v8, v7, v2
	s_delay_alu instid0(VALU_DEP_1)
	v_sub_nc_u64_e32 v[8:9], v[8:9], v[2:3]
.LBB45_11:
	s_and_not1_saveexec_b32 s2, s12
	s_cbranch_execz .LBB45_13
; %bb.12:
	v_cvt_f32_u32_e32 v2, s10
	s_sub_co_i32 s4, 0, s10
	s_delay_alu instid0(VALU_DEP_1) | instskip(SKIP_1) | instid1(TRANS32_DEP_1)
	v_rcp_iflag_f32_e32 v2, v2
	v_nop
	v_mul_f32_e32 v2, 0x4f7ffffe, v2
	s_delay_alu instid0(VALU_DEP_1) | instskip(NEXT) | instid1(VALU_DEP_1)
	v_cvt_u32_f32_e32 v2, v2
	v_mul_lo_u32 v3, s4, v2
	s_delay_alu instid0(VALU_DEP_1) | instskip(NEXT) | instid1(VALU_DEP_1)
	v_mul_hi_u32 v3, v2, v3
	v_add_nc_u32_e32 v2, v2, v3
	s_delay_alu instid0(VALU_DEP_1) | instskip(NEXT) | instid1(VALU_DEP_1)
	v_mul_hi_u32 v2, v0, v2
	v_mul_lo_u32 v3, v2, s10
	s_delay_alu instid0(VALU_DEP_1) | instskip(NEXT) | instid1(VALU_DEP_1)
	v_dual_add_nc_u32 v7, 1, v2 :: v_dual_sub_nc_u32 v3, v0, v3
	v_subrev_nc_u32_e32 v8, s10, v3
	v_cmp_le_u32_e32 vcc_lo, s10, v3
	s_delay_alu instid0(VALU_DEP_2) | instskip(NEXT) | instid1(VALU_DEP_1)
	v_dual_cndmask_b32 v3, v3, v8 :: v_dual_cndmask_b32 v2, v2, v7
	v_cmp_le_u32_e32 vcc_lo, s10, v3
	s_delay_alu instid0(VALU_DEP_2) | instskip(NEXT) | instid1(VALU_DEP_1)
	v_add_nc_u32_e32 v7, 1, v2
	v_cndmask_b32_e32 v8, v2, v7, vcc_lo
.LBB45_13:
	s_or_b32 exec_lo, exec_lo, s2
	v_mul_u64_e32 v[2:3], s[8:9], v[4:5]
	s_clause 0x1
	s_load_b128 s[20:23], s[0:1], 0xb0
	s_load_b512 s[4:19], s[0:1], 0x18
	s_bfe_u32 s2, ttmp6, 0x40014
	s_wait_kmcnt 0x0
	s_bfe_u32 s7, ttmp6, 0x40010
	s_lshr_b32 s24, ttmp7, 16
	s_and_b32 s5, ttmp7, 0xffff
	s_add_co_i32 s2, s2, 1
	s_add_co_i32 s7, s7, 1
	s_bfe_u32 s25, ttmp6, 0x40008
	s_bfe_u32 s9, ttmp6, 0x40004
	s_mul_i32 s2, s24, s2
	s_mul_i32 s7, s5, s7
	s_add_co_i32 s25, s25, s2
	s_add_co_i32 s9, s9, s7
	s_cmp_eq_u32 s3, 0
	s_load_b64 s[2:3], s[0:1], 0xa8
	s_cselect_b32 s7, s5, s9
	s_cselect_b32 s9, s24, s25
	v_dual_ashrrev_i32 v9, 31, v8 :: v_dual_ashrrev_i32 v7, 31, v6
	s_sub_co_i32 s25, 0, s20
	s_add_co_i32 s4, s20, s4
	s_sub_co_i32 s24, 0, s21
	s_add_co_i32 s4, s4, -1
	s_max_i32 s28, s20, 0
	v_maxmin_i32 v4, s20, v8, s4
	s_add_co_i32 s6, s21, s6
	s_max_i32 s25, s25, 0
	s_max_i32 s27, s21, 0
	;; [unrolled: 1-line block ×3, first 2 shown]
	s_add_co_i32 s4, s22, s8
	v_sub_nc_u64_e32 v[0:1], v[0:1], v[2:3]
	s_add_co_i32 s6, s6, -1
	s_sub_co_i32 s8, s25, s28
	v_maxmin_i32 v3, s21, v6, s6
	s_sub_co_i32 s6, s24, s27
	v_add_nc_u32_e32 v2, s8, v4
	s_sub_co_i32 s5, 0, s22
	s_max_i32 s26, s22, 0
	s_max_i32 s5, s5, 0
	s_add_co_i32 s4, s4, -1
	v_add_nc_u32_e32 v4, s6, v3
	v_maxmin_i32 v5, s22, v0, s4
	s_sub_co_i32 s4, s5, s26
	v_ashrrev_i32_e32 v3, 31, v2
	s_load_b32 s6, s[0:1], 0xc0
	s_delay_alu instid0(VALU_DEP_2) | instskip(NEXT) | instid1(VALU_DEP_2)
	v_dual_add_nc_u32 v10, s4, v5 :: v_dual_ashrrev_i32 v5, 31, v4
	v_mul_u64_e32 v[2:3], s[14:15], v[2:3]
	s_load_b64 s[4:5], s[0:1], 0x0
	s_wait_kmcnt 0x0
	v_mul_u64_e32 v[0:1], s[2:3], v[0:1]
	v_ashrrev_i32_e32 v11, 31, v10
	v_mul_u64_e32 v[4:5], s[16:17], v[4:5]
	s_add_co_i32 s16, s23, s7
	s_delay_alu instid0(SALU_CYCLE_1) | instskip(NEXT) | instid1(VALU_DEP_2)
	s_ashr_i32 s17, s16, 31
	v_mul_u64_e32 v[10:11], s[18:19], v[10:11]
	s_add_co_i32 s14, s6, s9
	s_mul_u64 s[8:9], s[12:13], s[16:17]
	s_ashr_i32 s15, s14, 31
	s_delay_alu instid0(SALU_CYCLE_1) | instskip(NEXT) | instid1(SALU_CYCLE_1)
	s_mul_u64 s[6:7], s[10:11], s[14:15]
	s_lshl_b64 s[6:7], s[6:7], 3
	s_delay_alu instid0(SALU_CYCLE_1) | instskip(SKIP_1) | instid1(SALU_CYCLE_1)
	s_add_nc_u64 s[4:5], s[4:5], s[6:7]
	s_lshl_b64 s[6:7], s[8:9], 3
	s_add_nc_u64 s[4:5], s[4:5], s[6:7]
	s_delay_alu instid0(SALU_CYCLE_1) | instskip(SKIP_1) | instid1(VALU_DEP_1)
	v_lshl_add_u64 v[2:3], v[2:3], 3, s[4:5]
	s_load_b256 s[4:11], s[0:1], 0x88
	v_lshl_add_u64 v[2:3], v[4:5], 3, v[2:3]
	s_wait_xcnt 0x0
	s_load_b64 s[0:1], s[0:1], 0x58
	s_delay_alu instid0(VALU_DEP_1)
	v_lshl_add_u64 v[2:3], v[10:11], 3, v[2:3]
	global_load_b64 v[2:3], v[2:3], off
	s_wait_kmcnt 0x0
	v_mul_u64_e32 v[4:5], s[8:9], v[8:9]
	v_mul_u64_e32 v[6:7], s[10:11], v[6:7]
	s_mul_u64 s[2:3], s[4:5], s[14:15]
	s_mul_u64 s[4:5], s[6:7], s[16:17]
	s_lshl_b64 s[2:3], s[2:3], 3
	s_delay_alu instid0(SALU_CYCLE_1) | instskip(SKIP_1) | instid1(SALU_CYCLE_1)
	s_add_nc_u64 s[0:1], s[0:1], s[2:3]
	s_lshl_b64 s[2:3], s[4:5], 3
	s_add_nc_u64 s[0:1], s[0:1], s[2:3]
	s_delay_alu instid0(VALU_DEP_2) | instid1(SALU_CYCLE_1)
	v_lshl_add_u64 v[4:5], v[4:5], 3, s[0:1]
	s_delay_alu instid0(VALU_DEP_1) | instskip(NEXT) | instid1(VALU_DEP_1)
	v_lshl_add_u64 v[4:5], v[6:7], 3, v[4:5]
	v_lshl_add_u64 v[0:1], v[0:1], 3, v[4:5]
	s_wait_loadcnt 0x0
	global_store_b64 v[0:1], v[2:3], off
.LBB45_14:
	s_endpgm
	.section	.rodata,"a",@progbits
	.p2align	6, 0x0
	.amdhsa_kernel _ZN2at6native12_GLOBAL__N_132replication_pad_forward_kernel3dIdEEvN5torch10headeronly6detail27GenericPackedTensorAccessorINS5_14TensorAccessorIN3c108ArrayRefIlEEKT_Lm4ENS4_16DefaultPtrTraitsElEENS_6detail16IndexBoundsCheckILm5ElEESC_Lm5ESD_lEENS6_INS7_ISA_SB_Lm4ESD_lEESH_SB_Lm5ESD_lEEiiiii
		.amdhsa_group_segment_fixed_size 0
		.amdhsa_private_segment_fixed_size 0
		.amdhsa_kernarg_size 456
		.amdhsa_user_sgpr_count 2
		.amdhsa_user_sgpr_dispatch_ptr 0
		.amdhsa_user_sgpr_queue_ptr 0
		.amdhsa_user_sgpr_kernarg_segment_ptr 1
		.amdhsa_user_sgpr_dispatch_id 0
		.amdhsa_user_sgpr_kernarg_preload_length 0
		.amdhsa_user_sgpr_kernarg_preload_offset 0
		.amdhsa_user_sgpr_private_segment_size 0
		.amdhsa_wavefront_size32 1
		.amdhsa_uses_dynamic_stack 0
		.amdhsa_enable_private_segment 0
		.amdhsa_system_sgpr_workgroup_id_x 1
		.amdhsa_system_sgpr_workgroup_id_y 1
		.amdhsa_system_sgpr_workgroup_id_z 1
		.amdhsa_system_sgpr_workgroup_info 0
		.amdhsa_system_vgpr_workitem_id 0
		.amdhsa_next_free_vgpr 22
		.amdhsa_next_free_sgpr 29
		.amdhsa_named_barrier_count 0
		.amdhsa_reserve_vcc 1
		.amdhsa_float_round_mode_32 0
		.amdhsa_float_round_mode_16_64 0
		.amdhsa_float_denorm_mode_32 3
		.amdhsa_float_denorm_mode_16_64 3
		.amdhsa_fp16_overflow 0
		.amdhsa_memory_ordered 1
		.amdhsa_forward_progress 1
		.amdhsa_inst_pref_size 23
		.amdhsa_round_robin_scheduling 0
		.amdhsa_exception_fp_ieee_invalid_op 0
		.amdhsa_exception_fp_denorm_src 0
		.amdhsa_exception_fp_ieee_div_zero 0
		.amdhsa_exception_fp_ieee_overflow 0
		.amdhsa_exception_fp_ieee_underflow 0
		.amdhsa_exception_fp_ieee_inexact 0
		.amdhsa_exception_int_div_zero 0
	.end_amdhsa_kernel
	.section	.text._ZN2at6native12_GLOBAL__N_132replication_pad_forward_kernel3dIdEEvN5torch10headeronly6detail27GenericPackedTensorAccessorINS5_14TensorAccessorIN3c108ArrayRefIlEEKT_Lm4ENS4_16DefaultPtrTraitsElEENS_6detail16IndexBoundsCheckILm5ElEESC_Lm5ESD_lEENS6_INS7_ISA_SB_Lm4ESD_lEESH_SB_Lm5ESD_lEEiiiii,"axG",@progbits,_ZN2at6native12_GLOBAL__N_132replication_pad_forward_kernel3dIdEEvN5torch10headeronly6detail27GenericPackedTensorAccessorINS5_14TensorAccessorIN3c108ArrayRefIlEEKT_Lm4ENS4_16DefaultPtrTraitsElEENS_6detail16IndexBoundsCheckILm5ElEESC_Lm5ESD_lEENS6_INS7_ISA_SB_Lm4ESD_lEESH_SB_Lm5ESD_lEEiiiii,comdat
.Lfunc_end45:
	.size	_ZN2at6native12_GLOBAL__N_132replication_pad_forward_kernel3dIdEEvN5torch10headeronly6detail27GenericPackedTensorAccessorINS5_14TensorAccessorIN3c108ArrayRefIlEEKT_Lm4ENS4_16DefaultPtrTraitsElEENS_6detail16IndexBoundsCheckILm5ElEESC_Lm5ESD_lEENS6_INS7_ISA_SB_Lm4ESD_lEESH_SB_Lm5ESD_lEEiiiii, .Lfunc_end45-_ZN2at6native12_GLOBAL__N_132replication_pad_forward_kernel3dIdEEvN5torch10headeronly6detail27GenericPackedTensorAccessorINS5_14TensorAccessorIN3c108ArrayRefIlEEKT_Lm4ENS4_16DefaultPtrTraitsElEENS_6detail16IndexBoundsCheckILm5ElEESC_Lm5ESD_lEENS6_INS7_ISA_SB_Lm4ESD_lEESH_SB_Lm5ESD_lEEiiiii
                                        ; -- End function
	.set _ZN2at6native12_GLOBAL__N_132replication_pad_forward_kernel3dIdEEvN5torch10headeronly6detail27GenericPackedTensorAccessorINS5_14TensorAccessorIN3c108ArrayRefIlEEKT_Lm4ENS4_16DefaultPtrTraitsElEENS_6detail16IndexBoundsCheckILm5ElEESC_Lm5ESD_lEENS6_INS7_ISA_SB_Lm4ESD_lEESH_SB_Lm5ESD_lEEiiiii.num_vgpr, 22
	.set _ZN2at6native12_GLOBAL__N_132replication_pad_forward_kernel3dIdEEvN5torch10headeronly6detail27GenericPackedTensorAccessorINS5_14TensorAccessorIN3c108ArrayRefIlEEKT_Lm4ENS4_16DefaultPtrTraitsElEENS_6detail16IndexBoundsCheckILm5ElEESC_Lm5ESD_lEENS6_INS7_ISA_SB_Lm4ESD_lEESH_SB_Lm5ESD_lEEiiiii.num_agpr, 0
	.set _ZN2at6native12_GLOBAL__N_132replication_pad_forward_kernel3dIdEEvN5torch10headeronly6detail27GenericPackedTensorAccessorINS5_14TensorAccessorIN3c108ArrayRefIlEEKT_Lm4ENS4_16DefaultPtrTraitsElEENS_6detail16IndexBoundsCheckILm5ElEESC_Lm5ESD_lEENS6_INS7_ISA_SB_Lm4ESD_lEESH_SB_Lm5ESD_lEEiiiii.numbered_sgpr, 29
	.set _ZN2at6native12_GLOBAL__N_132replication_pad_forward_kernel3dIdEEvN5torch10headeronly6detail27GenericPackedTensorAccessorINS5_14TensorAccessorIN3c108ArrayRefIlEEKT_Lm4ENS4_16DefaultPtrTraitsElEENS_6detail16IndexBoundsCheckILm5ElEESC_Lm5ESD_lEENS6_INS7_ISA_SB_Lm4ESD_lEESH_SB_Lm5ESD_lEEiiiii.num_named_barrier, 0
	.set _ZN2at6native12_GLOBAL__N_132replication_pad_forward_kernel3dIdEEvN5torch10headeronly6detail27GenericPackedTensorAccessorINS5_14TensorAccessorIN3c108ArrayRefIlEEKT_Lm4ENS4_16DefaultPtrTraitsElEENS_6detail16IndexBoundsCheckILm5ElEESC_Lm5ESD_lEENS6_INS7_ISA_SB_Lm4ESD_lEESH_SB_Lm5ESD_lEEiiiii.private_seg_size, 0
	.set _ZN2at6native12_GLOBAL__N_132replication_pad_forward_kernel3dIdEEvN5torch10headeronly6detail27GenericPackedTensorAccessorINS5_14TensorAccessorIN3c108ArrayRefIlEEKT_Lm4ENS4_16DefaultPtrTraitsElEENS_6detail16IndexBoundsCheckILm5ElEESC_Lm5ESD_lEENS6_INS7_ISA_SB_Lm4ESD_lEESH_SB_Lm5ESD_lEEiiiii.uses_vcc, 1
	.set _ZN2at6native12_GLOBAL__N_132replication_pad_forward_kernel3dIdEEvN5torch10headeronly6detail27GenericPackedTensorAccessorINS5_14TensorAccessorIN3c108ArrayRefIlEEKT_Lm4ENS4_16DefaultPtrTraitsElEENS_6detail16IndexBoundsCheckILm5ElEESC_Lm5ESD_lEENS6_INS7_ISA_SB_Lm4ESD_lEESH_SB_Lm5ESD_lEEiiiii.uses_flat_scratch, 0
	.set _ZN2at6native12_GLOBAL__N_132replication_pad_forward_kernel3dIdEEvN5torch10headeronly6detail27GenericPackedTensorAccessorINS5_14TensorAccessorIN3c108ArrayRefIlEEKT_Lm4ENS4_16DefaultPtrTraitsElEENS_6detail16IndexBoundsCheckILm5ElEESC_Lm5ESD_lEENS6_INS7_ISA_SB_Lm4ESD_lEESH_SB_Lm5ESD_lEEiiiii.has_dyn_sized_stack, 0
	.set _ZN2at6native12_GLOBAL__N_132replication_pad_forward_kernel3dIdEEvN5torch10headeronly6detail27GenericPackedTensorAccessorINS5_14TensorAccessorIN3c108ArrayRefIlEEKT_Lm4ENS4_16DefaultPtrTraitsElEENS_6detail16IndexBoundsCheckILm5ElEESC_Lm5ESD_lEENS6_INS7_ISA_SB_Lm4ESD_lEESH_SB_Lm5ESD_lEEiiiii.has_recursion, 0
	.set _ZN2at6native12_GLOBAL__N_132replication_pad_forward_kernel3dIdEEvN5torch10headeronly6detail27GenericPackedTensorAccessorINS5_14TensorAccessorIN3c108ArrayRefIlEEKT_Lm4ENS4_16DefaultPtrTraitsElEENS_6detail16IndexBoundsCheckILm5ElEESC_Lm5ESD_lEENS6_INS7_ISA_SB_Lm4ESD_lEESH_SB_Lm5ESD_lEEiiiii.has_indirect_call, 0
	.section	.AMDGPU.csdata,"",@progbits
; Kernel info:
; codeLenInByte = 2900
; TotalNumSgprs: 31
; NumVgprs: 22
; ScratchSize: 0
; MemoryBound: 0
; FloatMode: 240
; IeeeMode: 1
; LDSByteSize: 0 bytes/workgroup (compile time only)
; SGPRBlocks: 0
; VGPRBlocks: 1
; NumSGPRsForWavesPerEU: 31
; NumVGPRsForWavesPerEU: 22
; NamedBarCnt: 0
; Occupancy: 16
; WaveLimiterHint : 1
; COMPUTE_PGM_RSRC2:SCRATCH_EN: 0
; COMPUTE_PGM_RSRC2:USER_SGPR: 2
; COMPUTE_PGM_RSRC2:TRAP_HANDLER: 0
; COMPUTE_PGM_RSRC2:TGID_X_EN: 1
; COMPUTE_PGM_RSRC2:TGID_Y_EN: 1
; COMPUTE_PGM_RSRC2:TGID_Z_EN: 1
; COMPUTE_PGM_RSRC2:TIDIG_COMP_CNT: 0
	.section	.text._ZN2at6native12_GLOBAL__N_132replication_pad_forward_kernel3dIfEEvN5torch10headeronly6detail27GenericPackedTensorAccessorINS5_14TensorAccessorIN3c108ArrayRefIlEEKT_Lm4ENS4_16DefaultPtrTraitsElEENS_6detail16IndexBoundsCheckILm5ElEESC_Lm5ESD_lEENS6_INS7_ISA_SB_Lm4ESD_lEESH_SB_Lm5ESD_lEEiiiii,"axG",@progbits,_ZN2at6native12_GLOBAL__N_132replication_pad_forward_kernel3dIfEEvN5torch10headeronly6detail27GenericPackedTensorAccessorINS5_14TensorAccessorIN3c108ArrayRefIlEEKT_Lm4ENS4_16DefaultPtrTraitsElEENS_6detail16IndexBoundsCheckILm5ElEESC_Lm5ESD_lEENS6_INS7_ISA_SB_Lm4ESD_lEESH_SB_Lm5ESD_lEEiiiii,comdat
	.globl	_ZN2at6native12_GLOBAL__N_132replication_pad_forward_kernel3dIfEEvN5torch10headeronly6detail27GenericPackedTensorAccessorINS5_14TensorAccessorIN3c108ArrayRefIlEEKT_Lm4ENS4_16DefaultPtrTraitsElEENS_6detail16IndexBoundsCheckILm5ElEESC_Lm5ESD_lEENS6_INS7_ISA_SB_Lm4ESD_lEESH_SB_Lm5ESD_lEEiiiii ; -- Begin function _ZN2at6native12_GLOBAL__N_132replication_pad_forward_kernel3dIfEEvN5torch10headeronly6detail27GenericPackedTensorAccessorINS5_14TensorAccessorIN3c108ArrayRefIlEEKT_Lm4ENS4_16DefaultPtrTraitsElEENS_6detail16IndexBoundsCheckILm5ElEESC_Lm5ESD_lEENS6_INS7_ISA_SB_Lm4ESD_lEESH_SB_Lm5ESD_lEEiiiii
	.p2align	8
	.type	_ZN2at6native12_GLOBAL__N_132replication_pad_forward_kernel3dIfEEvN5torch10headeronly6detail27GenericPackedTensorAccessorINS5_14TensorAccessorIN3c108ArrayRefIlEEKT_Lm4ENS4_16DefaultPtrTraitsElEENS_6detail16IndexBoundsCheckILm5ElEESC_Lm5ESD_lEENS6_INS7_ISA_SB_Lm4ESD_lEESH_SB_Lm5ESD_lEEiiiii,@function
_ZN2at6native12_GLOBAL__N_132replication_pad_forward_kernel3dIfEEvN5torch10headeronly6detail27GenericPackedTensorAccessorINS5_14TensorAccessorIN3c108ArrayRefIlEEKT_Lm4ENS4_16DefaultPtrTraitsElEENS_6detail16IndexBoundsCheckILm5ElEESC_Lm5ESD_lEENS6_INS7_ISA_SB_Lm4ESD_lEESH_SB_Lm5ESD_lEEiiiii: ; @_ZN2at6native12_GLOBAL__N_132replication_pad_forward_kernel3dIfEEvN5torch10headeronly6detail27GenericPackedTensorAccessorINS5_14TensorAccessorIN3c108ArrayRefIlEEKT_Lm4ENS4_16DefaultPtrTraitsElEENS_6detail16IndexBoundsCheckILm5ElEESC_Lm5ESD_lEENS6_INS7_ISA_SB_Lm4ESD_lEESH_SB_Lm5ESD_lEEiiiii
; %bb.0:
	s_load_b32 s2, s[0:1], 0xd4
	s_bfe_u32 s4, ttmp6, 0x4000c
	s_and_b32 s10, ttmp6, 15
	s_add_co_i32 s11, s4, 1
	s_clause 0x1
	s_load_b128 s[4:7], s[0:1], 0x70
	s_load_b64 s[8:9], s[0:1], 0x80
	s_mul_i32 s11, ttmp9, s11
	s_getreg_b32 s3, hwreg(HW_REG_IB_STS2, 6, 4)
	s_add_co_i32 s10, s10, s11
	s_wait_kmcnt 0x0
	s_and_b32 s2, s2, 0xffff
	s_cmp_eq_u32 s3, 0
	s_cselect_b32 s10, ttmp9, s10
	s_delay_alu instid0(SALU_CYCLE_1) | instskip(SKIP_3) | instid1(VALU_DEP_1)
	v_mad_u32 v0, s10, s2, v0
	s_mul_u64 s[10:11], s[8:9], s[6:7]
	s_mov_b32 s2, exec_lo
	s_mul_u64 s[4:5], s[10:11], s[4:5]
	v_ashrrev_i32_e32 v1, 31, v0
	s_delay_alu instid0(VALU_DEP_1)
	v_cmpx_gt_i64_e64 s[4:5], v[0:1]
	s_cbranch_execz .LBB46_14
; %bb.1:
	v_dual_mov_b32 v6, 0 :: v_dual_bitop2_b32 v7, s9, v1 bitop3:0x54
	v_ashrrev_i32_e32 v2, 31, v1
                                        ; implicit-def: $vgpr4_vgpr5
	s_mov_b32 s2, exec_lo
	s_delay_alu instid0(VALU_DEP_2)
	v_cmpx_ne_u64_e32 0, v[6:7]
	s_xor_b32 s14, exec_lo, s2
	s_cbranch_execz .LBB46_3
; %bb.2:
	s_ashr_i32 s4, s9, 31
	s_mov_b32 s23, 0
	s_mov_b32 s5, s4
	v_dual_mov_b32 v3, v2 :: v_dual_mov_b32 v9, v6
	s_add_nc_u64 s[12:13], s[8:9], s[4:5]
	v_mov_b32_e32 v7, v6
	s_xor_b64 s[12:13], s[12:13], s[4:5]
	s_delay_alu instid0(VALU_DEP_2) | instskip(SKIP_4) | instid1(SALU_CYCLE_1)
	v_add_nc_u64_e32 v[4:5], v[0:1], v[2:3]
	s_cvt_f32_u32 s2, s12
	s_cvt_f32_u32 s5, s13
	s_sub_nc_u64 s[18:19], 0, s[12:13]
	v_dual_mov_b32 v11, v6 :: v_dual_mov_b32 v17, v6
	s_fmamk_f32 s2, s5, 0x4f800000, s2
	s_delay_alu instid0(VALU_DEP_2) | instskip(SKIP_1) | instid1(SALU_CYCLE_1)
	v_xor_b32_e32 v8, v4, v2
	v_xor_b32_e32 v10, v5, v2
	v_s_rcp_f32 s2, s2
	s_delay_alu instid0(TRANS32_DEP_1) | instskip(NEXT) | instid1(SALU_CYCLE_3)
	s_mul_f32 s2, s2, 0x5f7ffffc
	s_mul_f32 s5, s2, 0x2f800000
	s_delay_alu instid0(SALU_CYCLE_3) | instskip(NEXT) | instid1(SALU_CYCLE_3)
	s_trunc_f32 s5, s5
	s_fmamk_f32 s2, s5, 0xcf800000, s2
	s_cvt_u32_f32 s17, s5
	s_delay_alu instid0(SALU_CYCLE_2) | instskip(NEXT) | instid1(SALU_CYCLE_3)
	s_cvt_u32_f32 s16, s2
	s_mul_u64 s[20:21], s[18:19], s[16:17]
	s_delay_alu instid0(SALU_CYCLE_1)
	s_mul_hi_u32 s25, s16, s21
	s_mul_i32 s24, s16, s21
	s_mul_hi_u32 s22, s16, s20
	s_mul_i32 s5, s17, s20
	s_add_nc_u64 s[24:25], s[22:23], s[24:25]
	s_mul_hi_u32 s2, s17, s20
	s_mul_hi_u32 s15, s17, s21
	s_add_co_u32 s5, s24, s5
	s_add_co_ci_u32 s22, s25, s2
	s_mul_i32 s20, s17, s21
	s_add_co_ci_u32 s21, s15, 0
	s_delay_alu instid0(SALU_CYCLE_1) | instskip(NEXT) | instid1(SALU_CYCLE_1)
	s_add_nc_u64 s[20:21], s[22:23], s[20:21]
	s_add_co_u32 s16, s16, s20
	s_cselect_b32 s2, -1, 0
	s_delay_alu instid0(SALU_CYCLE_1) | instskip(SKIP_1) | instid1(SALU_CYCLE_1)
	s_cmp_lg_u32 s2, 0
	s_add_co_ci_u32 s17, s17, s21
	s_mul_u64 s[18:19], s[18:19], s[16:17]
	s_delay_alu instid0(SALU_CYCLE_1)
	s_mul_hi_u32 s21, s16, s19
	s_mul_i32 s20, s16, s19
	s_mul_hi_u32 s22, s16, s18
	s_mul_i32 s5, s17, s18
	s_add_nc_u64 s[20:21], s[22:23], s[20:21]
	s_mul_hi_u32 s2, s17, s18
	s_mul_hi_u32 s15, s17, s19
	s_add_co_u32 s5, s20, s5
	s_add_co_ci_u32 s22, s21, s2
	s_mul_i32 s18, s17, s19
	s_add_co_ci_u32 s19, s15, 0
	s_delay_alu instid0(SALU_CYCLE_1) | instskip(NEXT) | instid1(SALU_CYCLE_1)
	s_add_nc_u64 s[18:19], s[22:23], s[18:19]
	s_add_co_u32 s2, s16, s18
	s_cselect_b32 s5, -1, 0
	v_nop
	v_mul_hi_u32 v16, v8, s2
	s_cmp_lg_u32 s5, 0
	s_add_co_ci_u32 s22, s17, s19
	s_mov_b64 s[16:17], 0xffffffff
	v_mul_u64_e32 v[12:13], s[22:23], v[8:9]
	s_and_b64 s[16:17], s[2:3], s[16:17]
	v_mul_u64_e32 v[14:15], s[22:23], v[10:11]
	v_mul_u64_e32 v[4:5], s[16:17], v[10:11]
	s_delay_alu instid0(VALU_DEP_3) | instskip(NEXT) | instid1(VALU_DEP_1)
	v_add_nc_u64_e32 v[12:13], v[16:17], v[12:13]
	v_add_co_u32 v3, vcc_lo, v12, v4
	s_delay_alu instid0(VALU_DEP_2) | instskip(SKIP_1) | instid1(VALU_DEP_1)
	v_add_co_ci_u32_e32 v6, vcc_lo, v13, v5, vcc_lo
	v_add_co_ci_u32_e32 v15, vcc_lo, 0, v15, vcc_lo
	v_add_nc_u64_e32 v[4:5], v[6:7], v[14:15]
	s_delay_alu instid0(VALU_DEP_1) | instskip(NEXT) | instid1(VALU_DEP_1)
	v_mul_u64_e32 v[6:7], s[12:13], v[4:5]
	v_sub_nc_u32_e32 v3, v10, v7
	s_delay_alu instid0(VALU_DEP_2) | instskip(NEXT) | instid1(VALU_DEP_1)
	v_sub_co_u32 v6, vcc_lo, v8, v6
	v_sub_co_ci_u32_e64 v10, null, v10, v7, vcc_lo
	s_delay_alu instid0(VALU_DEP_3) | instskip(NEXT) | instid1(VALU_DEP_3)
	v_subrev_co_ci_u32_e64 v3, null, s13, v3, vcc_lo
	v_sub_co_u32 v8, s2, v6, s12
	s_delay_alu instid0(VALU_DEP_1) | instskip(NEXT) | instid1(VALU_DEP_2)
	v_subrev_co_ci_u32_e64 v3, null, 0, v3, s2
	v_cmp_le_u32_e32 vcc_lo, s12, v8
	v_cndmask_b32_e64 v7, 0, -1, vcc_lo
	s_delay_alu instid0(VALU_DEP_3)
	v_cmp_le_u32_e32 vcc_lo, s13, v3
	v_cndmask_b32_e64 v8, 0, -1, vcc_lo
	v_cmp_le_u32_e32 vcc_lo, s12, v6
	v_cndmask_b32_e64 v11, 0, -1, vcc_lo
	;; [unrolled: 2-line block ×3, first 2 shown]
	v_cmp_eq_u32_e32 vcc_lo, s13, v3
	v_cndmask_b32_e32 v3, v8, v7, vcc_lo
	v_cmp_eq_u32_e32 vcc_lo, s13, v10
	v_add_nc_u64_e32 v[6:7], 2, v[4:5]
	v_add_nc_u64_e32 v[8:9], 1, v[4:5]
	v_cndmask_b32_e32 v10, v12, v11, vcc_lo
	v_cmp_ne_u32_e32 vcc_lo, 0, v3
	s_delay_alu instid0(VALU_DEP_2) | instskip(NEXT) | instid1(VALU_DEP_4)
	v_cmp_ne_u32_e64 s2, 0, v10
	v_dual_cndmask_b32 v3, v9, v7, vcc_lo :: v_dual_cndmask_b32 v7, v8, v6, vcc_lo
	s_delay_alu instid0(VALU_DEP_1) | instskip(NEXT) | instid1(VALU_DEP_1)
	v_dual_cndmask_b32 v4, v4, v7, s2 :: v_dual_bitop2_b32 v6, s4, v2 bitop3:0x14
	v_dual_cndmask_b32 v3, v5, v3, s2 :: v_dual_mov_b32 v7, v6
	s_delay_alu instid0(VALU_DEP_2) | instskip(NEXT) | instid1(VALU_DEP_2)
	v_xor_b32_e32 v4, v4, v6
	v_xor_b32_e32 v5, v3, v6
	s_delay_alu instid0(VALU_DEP_1)
	v_sub_nc_u64_e32 v[4:5], v[4:5], v[6:7]
.LBB46_3:
	s_and_not1_saveexec_b32 s2, s14
	s_cbranch_execz .LBB46_5
; %bb.4:
	v_cvt_f32_u32_e32 v3, s8
	s_sub_co_i32 s4, 0, s8
	s_delay_alu instid0(VALU_DEP_1) | instskip(SKIP_1) | instid1(TRANS32_DEP_1)
	v_rcp_iflag_f32_e32 v3, v3
	v_nop
	v_mul_f32_e32 v3, 0x4f7ffffe, v3
	s_delay_alu instid0(VALU_DEP_1) | instskip(NEXT) | instid1(VALU_DEP_1)
	v_cvt_u32_f32_e32 v3, v3
	v_mul_lo_u32 v4, s4, v3
	s_delay_alu instid0(VALU_DEP_1) | instskip(NEXT) | instid1(VALU_DEP_1)
	v_mul_hi_u32 v4, v3, v4
	v_add_nc_u32_e32 v3, v3, v4
	s_delay_alu instid0(VALU_DEP_1) | instskip(NEXT) | instid1(VALU_DEP_1)
	v_mul_hi_u32 v3, v0, v3
	v_mul_lo_u32 v4, v3, s8
	s_delay_alu instid0(VALU_DEP_1) | instskip(NEXT) | instid1(VALU_DEP_1)
	v_dual_add_nc_u32 v5, 1, v3 :: v_dual_sub_nc_u32 v4, v0, v4
	v_subrev_nc_u32_e32 v6, s8, v4
	v_cmp_le_u32_e32 vcc_lo, s8, v4
	s_delay_alu instid0(VALU_DEP_2) | instskip(NEXT) | instid1(VALU_DEP_1)
	v_dual_cndmask_b32 v4, v4, v6 :: v_dual_cndmask_b32 v3, v3, v5
	v_cmp_le_u32_e32 vcc_lo, s8, v4
	s_delay_alu instid0(VALU_DEP_2) | instskip(NEXT) | instid1(VALU_DEP_1)
	v_add_nc_u32_e32 v5, 1, v3
	v_dual_cndmask_b32 v4, v3, v5 :: v_dual_mov_b32 v5, 0
.LBB46_5:
	s_or_b32 exec_lo, exec_lo, s2
	s_delay_alu instid0(VALU_DEP_1) | instskip(SKIP_1) | instid1(VALU_DEP_1)
	v_dual_mov_b32 v8, 0 :: v_dual_bitop2_b32 v9, s7, v5 bitop3:0x54
                                        ; implicit-def: $vgpr6_vgpr7
	s_mov_b32 s2, exec_lo
	v_cmpx_ne_u64_e32 0, v[8:9]
	s_xor_b32 s12, exec_lo, s2
	s_cbranch_execz .LBB46_7
; %bb.6:
	s_ashr_i32 s4, s7, 31
	s_mov_b32 s21, 0
	s_mov_b32 s5, s4
	v_dual_mov_b32 v13, v8 :: v_dual_ashrrev_i32 v6, 31, v5
	s_add_nc_u64 s[14:15], s[6:7], s[4:5]
	v_mov_b32_e32 v15, v8
	s_xor_b64 s[4:5], s[14:15], s[4:5]
	s_delay_alu instid0(VALU_DEP_2)
	v_mov_b32_e32 v7, v6
	s_cvt_f32_u32 s2, s4
	s_cvt_f32_u32 s7, s5
	s_sub_nc_u64 s[16:17], 0, s[4:5]
	v_mov_b32_e32 v21, v8
	v_add_nc_u64_e32 v[10:11], v[4:5], v[6:7]
	s_fmamk_f32 s2, s7, 0x4f800000, s2
	v_mov_b32_e32 v9, v8
	s_delay_alu instid0(SALU_CYCLE_2) | instskip(NEXT) | instid1(VALU_DEP_2)
	v_s_rcp_f32 s2, s2
	v_xor_b32_e32 v12, v10, v6
	s_delay_alu instid0(VALU_DEP_3) | instskip(NEXT) | instid1(TRANS32_DEP_1)
	v_xor_b32_e32 v14, v11, v6
	s_mul_f32 s2, s2, 0x5f7ffffc
	s_delay_alu instid0(SALU_CYCLE_3) | instskip(NEXT) | instid1(SALU_CYCLE_3)
	s_mul_f32 s7, s2, 0x2f800000
	s_trunc_f32 s7, s7
	s_delay_alu instid0(SALU_CYCLE_3) | instskip(SKIP_1) | instid1(SALU_CYCLE_2)
	s_fmamk_f32 s2, s7, 0xcf800000, s2
	s_cvt_u32_f32 s15, s7
	s_cvt_u32_f32 s14, s2
	s_delay_alu instid0(SALU_CYCLE_3) | instskip(NEXT) | instid1(SALU_CYCLE_1)
	s_mul_u64 s[18:19], s[16:17], s[14:15]
	s_mul_hi_u32 s23, s14, s19
	s_mul_i32 s22, s14, s19
	s_mul_hi_u32 s20, s14, s18
	s_mul_i32 s7, s15, s18
	s_add_nc_u64 s[22:23], s[20:21], s[22:23]
	s_mul_hi_u32 s2, s15, s18
	s_mul_hi_u32 s13, s15, s19
	s_add_co_u32 s7, s22, s7
	s_add_co_ci_u32 s20, s23, s2
	s_mul_i32 s18, s15, s19
	s_add_co_ci_u32 s19, s13, 0
	s_delay_alu instid0(SALU_CYCLE_1) | instskip(NEXT) | instid1(SALU_CYCLE_1)
	s_add_nc_u64 s[18:19], s[20:21], s[18:19]
	s_add_co_u32 s14, s14, s18
	s_cselect_b32 s2, -1, 0
	s_delay_alu instid0(SALU_CYCLE_1) | instskip(SKIP_1) | instid1(SALU_CYCLE_1)
	s_cmp_lg_u32 s2, 0
	s_add_co_ci_u32 s15, s15, s19
	s_mul_u64 s[16:17], s[16:17], s[14:15]
	s_delay_alu instid0(SALU_CYCLE_1)
	s_mul_hi_u32 s19, s14, s17
	s_mul_i32 s18, s14, s17
	s_mul_hi_u32 s20, s14, s16
	s_mul_i32 s7, s15, s16
	s_add_nc_u64 s[18:19], s[20:21], s[18:19]
	s_mul_hi_u32 s2, s15, s16
	s_mul_hi_u32 s13, s15, s17
	s_add_co_u32 s7, s18, s7
	s_add_co_ci_u32 s20, s19, s2
	s_mul_i32 s16, s15, s17
	s_add_co_ci_u32 s17, s13, 0
	s_delay_alu instid0(SALU_CYCLE_1) | instskip(NEXT) | instid1(SALU_CYCLE_1)
	s_add_nc_u64 s[16:17], s[20:21], s[16:17]
	s_add_co_u32 s2, s14, s16
	s_cselect_b32 s7, -1, 0
	v_mul_hi_u32 v20, v12, s2
	s_cmp_lg_u32 s7, 0
	s_add_co_ci_u32 s20, s15, s17
	s_mov_b64 s[14:15], 0xffffffff
	v_mul_u64_e32 v[16:17], s[20:21], v[12:13]
	s_and_b64 s[14:15], s[2:3], s[14:15]
	v_mul_u64_e32 v[18:19], s[20:21], v[14:15]
	v_mul_u64_e32 v[10:11], s[14:15], v[14:15]
	s_delay_alu instid0(VALU_DEP_3) | instskip(NEXT) | instid1(VALU_DEP_1)
	v_add_nc_u64_e32 v[16:17], v[20:21], v[16:17]
	v_add_co_u32 v3, vcc_lo, v16, v10
	s_delay_alu instid0(VALU_DEP_2) | instskip(SKIP_1) | instid1(VALU_DEP_1)
	v_add_co_ci_u32_e32 v8, vcc_lo, v17, v11, vcc_lo
	v_add_co_ci_u32_e32 v19, vcc_lo, 0, v19, vcc_lo
	v_add_nc_u64_e32 v[8:9], v[8:9], v[18:19]
	s_delay_alu instid0(VALU_DEP_1) | instskip(NEXT) | instid1(VALU_DEP_1)
	v_mul_u64_e32 v[8:9], s[4:5], v[8:9]
	v_sub_co_u32 v8, vcc_lo, v12, v8
	s_delay_alu instid0(VALU_DEP_1) | instskip(NEXT) | instid1(VALU_DEP_1)
	v_cmp_le_u32_e64 s2, s4, v8
	v_cndmask_b32_e64 v12, 0, -1, s2
	s_delay_alu instid0(VALU_DEP_4) | instskip(SKIP_1) | instid1(VALU_DEP_2)
	v_sub_nc_u32_e32 v3, v14, v9
	v_sub_co_ci_u32_e64 v9, null, v14, v9, vcc_lo
	v_subrev_co_ci_u32_e64 v3, null, s5, v3, vcc_lo
	v_sub_co_u32 v10, vcc_lo, v8, s4
	s_delay_alu instid0(VALU_DEP_1) | instskip(NEXT) | instid1(VALU_DEP_2)
	v_subrev_co_ci_u32_e64 v11, null, 0, v3, vcc_lo
	v_cmp_le_u32_e64 s2, s4, v10
	v_subrev_co_ci_u32_e64 v3, null, s5, v3, vcc_lo
	v_cmp_le_u32_e32 vcc_lo, s5, v9
	s_delay_alu instid0(VALU_DEP_3) | instskip(SKIP_3) | instid1(VALU_DEP_3)
	v_cndmask_b32_e64 v13, 0, -1, s2
	v_cmp_le_u32_e64 s2, s5, v11
	v_cndmask_b32_e64 v15, 0, -1, vcc_lo
	v_cmp_eq_u32_e32 vcc_lo, s5, v11
	v_cndmask_b32_e64 v14, 0, -1, s2
	v_cmp_eq_u32_e64 s2, s5, v9
	s_delay_alu instid0(VALU_DEP_2) | instskip(SKIP_1) | instid1(VALU_DEP_1)
	v_cndmask_b32_e32 v13, v14, v13, vcc_lo
	v_sub_co_u32 v14, vcc_lo, v10, s4
	v_subrev_co_ci_u32_e64 v3, null, 0, v3, vcc_lo
	s_delay_alu instid0(VALU_DEP_3) | instskip(SKIP_1) | instid1(VALU_DEP_3)
	v_cmp_ne_u32_e32 vcc_lo, 0, v13
	v_cndmask_b32_e64 v12, v15, v12, s2
	v_dual_cndmask_b32 v3, v11, v3 :: v_dual_cndmask_b32 v10, v10, v14
	s_delay_alu instid0(VALU_DEP_2) | instskip(NEXT) | instid1(VALU_DEP_2)
	v_cmp_ne_u32_e32 vcc_lo, 0, v12
	v_dual_cndmask_b32 v3, v9, v3 :: v_dual_cndmask_b32 v8, v8, v10
	s_delay_alu instid0(VALU_DEP_1) | instskip(NEXT) | instid1(VALU_DEP_2)
	v_xor_b32_e32 v9, v3, v6
	v_xor_b32_e32 v8, v8, v6
	s_delay_alu instid0(VALU_DEP_1)
	v_sub_nc_u64_e32 v[6:7], v[8:9], v[6:7]
.LBB46_7:
	s_and_not1_saveexec_b32 s2, s12
	s_cbranch_execz .LBB46_9
; %bb.8:
	v_cvt_f32_u32_e32 v3, s6
	s_sub_co_i32 s4, 0, s6
	s_delay_alu instid0(VALU_DEP_1) | instskip(SKIP_1) | instid1(TRANS32_DEP_1)
	v_rcp_iflag_f32_e32 v3, v3
	v_nop
	v_mul_f32_e32 v3, 0x4f7ffffe, v3
	s_delay_alu instid0(VALU_DEP_1) | instskip(NEXT) | instid1(VALU_DEP_1)
	v_cvt_u32_f32_e32 v3, v3
	v_mul_lo_u32 v6, s4, v3
	s_delay_alu instid0(VALU_DEP_1) | instskip(NEXT) | instid1(VALU_DEP_1)
	v_mul_hi_u32 v6, v3, v6
	v_add_nc_u32_e32 v3, v3, v6
	s_delay_alu instid0(VALU_DEP_1) | instskip(NEXT) | instid1(VALU_DEP_1)
	v_mul_hi_u32 v3, v4, v3
	v_mul_lo_u32 v3, v3, s6
	s_delay_alu instid0(VALU_DEP_1) | instskip(NEXT) | instid1(VALU_DEP_1)
	v_sub_nc_u32_e32 v3, v4, v3
	v_subrev_nc_u32_e32 v6, s6, v3
	v_cmp_le_u32_e32 vcc_lo, s6, v3
	s_delay_alu instid0(VALU_DEP_2) | instskip(NEXT) | instid1(VALU_DEP_1)
	v_cndmask_b32_e32 v3, v3, v6, vcc_lo
	v_subrev_nc_u32_e32 v6, s6, v3
	v_cmp_le_u32_e32 vcc_lo, s6, v3
	s_delay_alu instid0(VALU_DEP_2)
	v_cndmask_b32_e32 v6, v3, v6, vcc_lo
.LBB46_9:
	s_or_b32 exec_lo, exec_lo, s2
	v_dual_mov_b32 v10, 0 :: v_dual_bitop2_b32 v11, s11, v1 bitop3:0x54
                                        ; implicit-def: $vgpr8_vgpr9
	s_mov_b32 s2, exec_lo
	s_delay_alu instid0(VALU_DEP_1)
	v_cmpx_ne_u64_e32 0, v[10:11]
	s_xor_b32 s12, exec_lo, s2
	s_cbranch_execz .LBB46_11
; %bb.10:
	s_ashr_i32 s4, s11, 31
	s_mov_b32 s21, 0
	s_mov_b32 s5, s4
	v_dual_mov_b32 v3, v2 :: v_dual_mov_b32 v13, v10
	s_add_nc_u64 s[6:7], s[10:11], s[4:5]
	v_mov_b32_e32 v11, v10
	s_xor_b64 s[6:7], s[6:7], s[4:5]
	s_delay_alu instid0(VALU_DEP_2) | instskip(SKIP_4) | instid1(SALU_CYCLE_1)
	v_add_nc_u64_e32 v[8:9], v[0:1], v[2:3]
	s_cvt_f32_u32 s2, s6
	s_cvt_f32_u32 s5, s7
	s_sub_nc_u64 s[16:17], 0, s[6:7]
	v_dual_mov_b32 v15, v10 :: v_dual_mov_b32 v21, v10
	s_fmamk_f32 s2, s5, 0x4f800000, s2
	s_delay_alu instid0(VALU_DEP_2) | instskip(SKIP_3) | instid1(TRANS32_DEP_1)
	v_xor_b32_e32 v12, v8, v2
	v_xor_b32_e32 v14, v9, v2
	;; [unrolled: 1-line block ×3, first 2 shown]
	v_s_rcp_f32 s2, s2
	s_mul_f32 s2, s2, 0x5f7ffffc
	s_delay_alu instid0(SALU_CYCLE_3) | instskip(NEXT) | instid1(SALU_CYCLE_3)
	s_mul_f32 s5, s2, 0x2f800000
	s_trunc_f32 s5, s5
	s_delay_alu instid0(SALU_CYCLE_3) | instskip(SKIP_1) | instid1(SALU_CYCLE_2)
	s_fmamk_f32 s2, s5, 0xcf800000, s2
	s_cvt_u32_f32 s15, s5
	s_cvt_u32_f32 s14, s2
	s_delay_alu instid0(SALU_CYCLE_3) | instskip(NEXT) | instid1(SALU_CYCLE_1)
	s_mul_u64 s[18:19], s[16:17], s[14:15]
	s_mul_hi_u32 s23, s14, s19
	s_mul_i32 s22, s14, s19
	s_mul_hi_u32 s20, s14, s18
	s_mul_i32 s5, s15, s18
	s_add_nc_u64 s[22:23], s[20:21], s[22:23]
	s_mul_hi_u32 s2, s15, s18
	s_mul_hi_u32 s11, s15, s19
	s_add_co_u32 s5, s22, s5
	s_add_co_ci_u32 s20, s23, s2
	s_mul_i32 s18, s15, s19
	s_add_co_ci_u32 s19, s11, 0
	s_delay_alu instid0(SALU_CYCLE_1) | instskip(NEXT) | instid1(SALU_CYCLE_1)
	s_add_nc_u64 s[18:19], s[20:21], s[18:19]
	s_add_co_u32 s14, s14, s18
	s_cselect_b32 s2, -1, 0
	s_delay_alu instid0(SALU_CYCLE_1) | instskip(SKIP_1) | instid1(SALU_CYCLE_1)
	s_cmp_lg_u32 s2, 0
	s_add_co_ci_u32 s15, s15, s19
	s_mul_u64 s[16:17], s[16:17], s[14:15]
	s_delay_alu instid0(SALU_CYCLE_1)
	s_mul_hi_u32 s19, s14, s17
	s_mul_i32 s18, s14, s17
	s_mul_hi_u32 s20, s14, s16
	s_mul_i32 s5, s15, s16
	s_add_nc_u64 s[18:19], s[20:21], s[18:19]
	s_mul_hi_u32 s2, s15, s16
	s_mul_hi_u32 s11, s15, s17
	s_add_co_u32 s5, s18, s5
	s_add_co_ci_u32 s20, s19, s2
	s_mul_i32 s16, s15, s17
	s_add_co_ci_u32 s17, s11, 0
	s_delay_alu instid0(SALU_CYCLE_1) | instskip(NEXT) | instid1(SALU_CYCLE_1)
	s_add_nc_u64 s[16:17], s[20:21], s[16:17]
	s_add_co_u32 s2, s14, s16
	s_cselect_b32 s5, -1, 0
	v_nop
	v_mul_hi_u32 v20, v12, s2
	s_cmp_lg_u32 s5, 0
	s_add_co_ci_u32 s20, s15, s17
	s_mov_b64 s[14:15], 0xffffffff
	v_mul_u64_e32 v[16:17], s[20:21], v[12:13]
	s_and_b64 s[14:15], s[2:3], s[14:15]
	v_mul_u64_e32 v[18:19], s[20:21], v[14:15]
	v_mul_u64_e32 v[8:9], s[14:15], v[14:15]
	s_delay_alu instid0(VALU_DEP_3) | instskip(NEXT) | instid1(VALU_DEP_1)
	v_add_nc_u64_e32 v[16:17], v[20:21], v[16:17]
	v_add_co_u32 v3, vcc_lo, v16, v8
	s_delay_alu instid0(VALU_DEP_2) | instskip(SKIP_1) | instid1(VALU_DEP_1)
	v_add_co_ci_u32_e32 v10, vcc_lo, v17, v9, vcc_lo
	v_add_co_ci_u32_e32 v19, vcc_lo, 0, v19, vcc_lo
	v_add_nc_u64_e32 v[8:9], v[10:11], v[18:19]
	s_delay_alu instid0(VALU_DEP_1) | instskip(NEXT) | instid1(VALU_DEP_1)
	v_mul_u64_e32 v[10:11], s[6:7], v[8:9]
	v_sub_co_u32 v7, vcc_lo, v12, v10
	v_add_nc_u64_e32 v[12:13], 1, v[8:9]
	s_delay_alu instid0(VALU_DEP_3) | instskip(SKIP_1) | instid1(VALU_DEP_4)
	v_sub_nc_u32_e32 v3, v14, v11
	v_sub_co_ci_u32_e64 v14, null, v14, v11, vcc_lo
	v_sub_co_u32 v10, s2, v7, s6
	s_delay_alu instid0(VALU_DEP_3) | instskip(NEXT) | instid1(VALU_DEP_2)
	v_subrev_co_ci_u32_e64 v3, null, s7, v3, vcc_lo
	v_cmp_le_u32_e32 vcc_lo, s6, v10
	s_delay_alu instid0(VALU_DEP_2) | instskip(SKIP_1) | instid1(VALU_DEP_2)
	v_subrev_co_ci_u32_e64 v3, null, 0, v3, s2
	v_cndmask_b32_e64 v10, 0, -1, vcc_lo
	v_cmp_le_u32_e32 vcc_lo, s7, v3
	v_cndmask_b32_e64 v11, 0, -1, vcc_lo
	v_cmp_le_u32_e32 vcc_lo, s6, v7
	;; [unrolled: 2-line block ×3, first 2 shown]
	v_cndmask_b32_e64 v15, 0, -1, vcc_lo
	v_cmp_eq_u32_e32 vcc_lo, s7, v3
	v_cndmask_b32_e32 v3, v11, v10, vcc_lo
	v_cmp_eq_u32_e32 vcc_lo, s7, v14
	v_add_nc_u64_e32 v[10:11], 2, v[8:9]
	v_cndmask_b32_e32 v7, v15, v7, vcc_lo
	s_delay_alu instid0(VALU_DEP_4) | instskip(NEXT) | instid1(VALU_DEP_2)
	v_cmp_ne_u32_e32 vcc_lo, 0, v3
	v_cmp_ne_u32_e64 s2, 0, v7
	s_delay_alu instid0(VALU_DEP_4) | instskip(NEXT) | instid1(VALU_DEP_1)
	v_dual_cndmask_b32 v3, v13, v11, vcc_lo :: v_dual_cndmask_b32 v7, v12, v10, vcc_lo
	v_dual_cndmask_b32 v9, v9, v3, s2 :: v_dual_mov_b32 v3, v2
	s_delay_alu instid0(VALU_DEP_1) | instskip(NEXT) | instid1(VALU_DEP_1)
	v_dual_cndmask_b32 v7, v8, v7, s2 :: v_dual_bitop2_b32 v9, v9, v2 bitop3:0x14
	v_xor_b32_e32 v8, v7, v2
	s_delay_alu instid0(VALU_DEP_1)
	v_sub_nc_u64_e32 v[8:9], v[8:9], v[2:3]
.LBB46_11:
	s_and_not1_saveexec_b32 s2, s12
	s_cbranch_execz .LBB46_13
; %bb.12:
	v_cvt_f32_u32_e32 v2, s10
	s_sub_co_i32 s4, 0, s10
	s_delay_alu instid0(VALU_DEP_1) | instskip(SKIP_1) | instid1(TRANS32_DEP_1)
	v_rcp_iflag_f32_e32 v2, v2
	v_nop
	v_mul_f32_e32 v2, 0x4f7ffffe, v2
	s_delay_alu instid0(VALU_DEP_1) | instskip(NEXT) | instid1(VALU_DEP_1)
	v_cvt_u32_f32_e32 v2, v2
	v_mul_lo_u32 v3, s4, v2
	s_delay_alu instid0(VALU_DEP_1) | instskip(NEXT) | instid1(VALU_DEP_1)
	v_mul_hi_u32 v3, v2, v3
	v_add_nc_u32_e32 v2, v2, v3
	s_delay_alu instid0(VALU_DEP_1) | instskip(NEXT) | instid1(VALU_DEP_1)
	v_mul_hi_u32 v2, v0, v2
	v_mul_lo_u32 v3, v2, s10
	s_delay_alu instid0(VALU_DEP_1) | instskip(NEXT) | instid1(VALU_DEP_1)
	v_dual_add_nc_u32 v7, 1, v2 :: v_dual_sub_nc_u32 v3, v0, v3
	v_subrev_nc_u32_e32 v8, s10, v3
	v_cmp_le_u32_e32 vcc_lo, s10, v3
	s_delay_alu instid0(VALU_DEP_2) | instskip(NEXT) | instid1(VALU_DEP_1)
	v_dual_cndmask_b32 v3, v3, v8 :: v_dual_cndmask_b32 v2, v2, v7
	v_cmp_le_u32_e32 vcc_lo, s10, v3
	s_delay_alu instid0(VALU_DEP_2) | instskip(NEXT) | instid1(VALU_DEP_1)
	v_add_nc_u32_e32 v7, 1, v2
	v_cndmask_b32_e32 v8, v2, v7, vcc_lo
.LBB46_13:
	s_or_b32 exec_lo, exec_lo, s2
	v_mul_u64_e32 v[2:3], s[8:9], v[4:5]
	s_clause 0x1
	s_load_b128 s[20:23], s[0:1], 0xb0
	s_load_b512 s[4:19], s[0:1], 0x18
	s_bfe_u32 s2, ttmp6, 0x40014
	s_wait_kmcnt 0x0
	s_bfe_u32 s7, ttmp6, 0x40010
	s_lshr_b32 s24, ttmp7, 16
	s_and_b32 s5, ttmp7, 0xffff
	s_add_co_i32 s2, s2, 1
	s_add_co_i32 s7, s7, 1
	s_bfe_u32 s25, ttmp6, 0x40008
	s_bfe_u32 s9, ttmp6, 0x40004
	s_mul_i32 s2, s24, s2
	s_mul_i32 s7, s5, s7
	s_add_co_i32 s25, s25, s2
	s_add_co_i32 s9, s9, s7
	s_cmp_eq_u32 s3, 0
	s_load_b64 s[2:3], s[0:1], 0xa8
	s_cselect_b32 s7, s5, s9
	s_cselect_b32 s9, s24, s25
	v_dual_ashrrev_i32 v9, 31, v8 :: v_dual_ashrrev_i32 v7, 31, v6
	s_sub_co_i32 s25, 0, s20
	s_add_co_i32 s4, s20, s4
	s_sub_co_i32 s24, 0, s21
	s_add_co_i32 s4, s4, -1
	s_max_i32 s28, s20, 0
	v_maxmin_i32 v4, s20, v8, s4
	s_add_co_i32 s6, s21, s6
	s_max_i32 s25, s25, 0
	s_max_i32 s27, s21, 0
	;; [unrolled: 1-line block ×3, first 2 shown]
	s_add_co_i32 s4, s22, s8
	v_sub_nc_u64_e32 v[0:1], v[0:1], v[2:3]
	s_add_co_i32 s6, s6, -1
	s_sub_co_i32 s8, s25, s28
	v_maxmin_i32 v3, s21, v6, s6
	s_sub_co_i32 s6, s24, s27
	v_add_nc_u32_e32 v2, s8, v4
	s_sub_co_i32 s5, 0, s22
	s_max_i32 s26, s22, 0
	s_max_i32 s5, s5, 0
	s_add_co_i32 s4, s4, -1
	v_add_nc_u32_e32 v4, s6, v3
	v_maxmin_i32 v5, s22, v0, s4
	s_sub_co_i32 s4, s5, s26
	v_ashrrev_i32_e32 v3, 31, v2
	s_load_b32 s6, s[0:1], 0xc0
	s_delay_alu instid0(VALU_DEP_2) | instskip(NEXT) | instid1(VALU_DEP_2)
	v_dual_add_nc_u32 v10, s4, v5 :: v_dual_ashrrev_i32 v5, 31, v4
	v_mul_u64_e32 v[2:3], s[14:15], v[2:3]
	s_load_b64 s[4:5], s[0:1], 0x0
	s_wait_kmcnt 0x0
	v_mul_u64_e32 v[0:1], s[2:3], v[0:1]
	v_ashrrev_i32_e32 v11, 31, v10
	v_mul_u64_e32 v[4:5], s[16:17], v[4:5]
	s_add_co_i32 s16, s23, s7
	s_delay_alu instid0(SALU_CYCLE_1) | instskip(NEXT) | instid1(VALU_DEP_2)
	s_ashr_i32 s17, s16, 31
	v_mul_u64_e32 v[10:11], s[18:19], v[10:11]
	s_add_co_i32 s14, s6, s9
	s_mul_u64 s[8:9], s[12:13], s[16:17]
	s_ashr_i32 s15, s14, 31
	s_delay_alu instid0(SALU_CYCLE_1) | instskip(NEXT) | instid1(SALU_CYCLE_1)
	s_mul_u64 s[6:7], s[10:11], s[14:15]
	s_lshl_b64 s[6:7], s[6:7], 2
	s_delay_alu instid0(SALU_CYCLE_1) | instskip(SKIP_1) | instid1(SALU_CYCLE_1)
	s_add_nc_u64 s[4:5], s[4:5], s[6:7]
	s_lshl_b64 s[6:7], s[8:9], 2
	s_add_nc_u64 s[4:5], s[4:5], s[6:7]
	s_delay_alu instid0(SALU_CYCLE_1) | instskip(SKIP_1) | instid1(VALU_DEP_1)
	v_lshl_add_u64 v[2:3], v[2:3], 2, s[4:5]
	s_load_b256 s[4:11], s[0:1], 0x88
	v_lshl_add_u64 v[2:3], v[4:5], 2, v[2:3]
	s_wait_xcnt 0x0
	s_load_b64 s[0:1], s[0:1], 0x58
	s_delay_alu instid0(VALU_DEP_1)
	v_lshl_add_u64 v[2:3], v[10:11], 2, v[2:3]
	global_load_b32 v10, v[2:3], off
	s_wait_kmcnt 0x0
	v_mul_u64_e32 v[2:3], s[8:9], v[8:9]
	v_mul_u64_e32 v[4:5], s[10:11], v[6:7]
	s_mul_u64 s[2:3], s[4:5], s[14:15]
	s_mul_u64 s[4:5], s[6:7], s[16:17]
	s_lshl_b64 s[2:3], s[2:3], 2
	s_delay_alu instid0(SALU_CYCLE_1) | instskip(SKIP_1) | instid1(SALU_CYCLE_1)
	s_add_nc_u64 s[0:1], s[0:1], s[2:3]
	s_lshl_b64 s[2:3], s[4:5], 2
	s_add_nc_u64 s[0:1], s[0:1], s[2:3]
	s_delay_alu instid0(VALU_DEP_2) | instid1(SALU_CYCLE_1)
	v_lshl_add_u64 v[2:3], v[2:3], 2, s[0:1]
	s_delay_alu instid0(VALU_DEP_1) | instskip(NEXT) | instid1(VALU_DEP_1)
	v_lshl_add_u64 v[2:3], v[4:5], 2, v[2:3]
	v_lshl_add_u64 v[0:1], v[0:1], 2, v[2:3]
	s_wait_loadcnt 0x0
	global_store_b32 v[0:1], v10, off
.LBB46_14:
	s_endpgm
	.section	.rodata,"a",@progbits
	.p2align	6, 0x0
	.amdhsa_kernel _ZN2at6native12_GLOBAL__N_132replication_pad_forward_kernel3dIfEEvN5torch10headeronly6detail27GenericPackedTensorAccessorINS5_14TensorAccessorIN3c108ArrayRefIlEEKT_Lm4ENS4_16DefaultPtrTraitsElEENS_6detail16IndexBoundsCheckILm5ElEESC_Lm5ESD_lEENS6_INS7_ISA_SB_Lm4ESD_lEESH_SB_Lm5ESD_lEEiiiii
		.amdhsa_group_segment_fixed_size 0
		.amdhsa_private_segment_fixed_size 0
		.amdhsa_kernarg_size 456
		.amdhsa_user_sgpr_count 2
		.amdhsa_user_sgpr_dispatch_ptr 0
		.amdhsa_user_sgpr_queue_ptr 0
		.amdhsa_user_sgpr_kernarg_segment_ptr 1
		.amdhsa_user_sgpr_dispatch_id 0
		.amdhsa_user_sgpr_kernarg_preload_length 0
		.amdhsa_user_sgpr_kernarg_preload_offset 0
		.amdhsa_user_sgpr_private_segment_size 0
		.amdhsa_wavefront_size32 1
		.amdhsa_uses_dynamic_stack 0
		.amdhsa_enable_private_segment 0
		.amdhsa_system_sgpr_workgroup_id_x 1
		.amdhsa_system_sgpr_workgroup_id_y 1
		.amdhsa_system_sgpr_workgroup_id_z 1
		.amdhsa_system_sgpr_workgroup_info 0
		.amdhsa_system_vgpr_workitem_id 0
		.amdhsa_next_free_vgpr 22
		.amdhsa_next_free_sgpr 29
		.amdhsa_named_barrier_count 0
		.amdhsa_reserve_vcc 1
		.amdhsa_float_round_mode_32 0
		.amdhsa_float_round_mode_16_64 0
		.amdhsa_float_denorm_mode_32 3
		.amdhsa_float_denorm_mode_16_64 3
		.amdhsa_fp16_overflow 0
		.amdhsa_memory_ordered 1
		.amdhsa_forward_progress 1
		.amdhsa_inst_pref_size 23
		.amdhsa_round_robin_scheduling 0
		.amdhsa_exception_fp_ieee_invalid_op 0
		.amdhsa_exception_fp_denorm_src 0
		.amdhsa_exception_fp_ieee_div_zero 0
		.amdhsa_exception_fp_ieee_overflow 0
		.amdhsa_exception_fp_ieee_underflow 0
		.amdhsa_exception_fp_ieee_inexact 0
		.amdhsa_exception_int_div_zero 0
	.end_amdhsa_kernel
	.section	.text._ZN2at6native12_GLOBAL__N_132replication_pad_forward_kernel3dIfEEvN5torch10headeronly6detail27GenericPackedTensorAccessorINS5_14TensorAccessorIN3c108ArrayRefIlEEKT_Lm4ENS4_16DefaultPtrTraitsElEENS_6detail16IndexBoundsCheckILm5ElEESC_Lm5ESD_lEENS6_INS7_ISA_SB_Lm4ESD_lEESH_SB_Lm5ESD_lEEiiiii,"axG",@progbits,_ZN2at6native12_GLOBAL__N_132replication_pad_forward_kernel3dIfEEvN5torch10headeronly6detail27GenericPackedTensorAccessorINS5_14TensorAccessorIN3c108ArrayRefIlEEKT_Lm4ENS4_16DefaultPtrTraitsElEENS_6detail16IndexBoundsCheckILm5ElEESC_Lm5ESD_lEENS6_INS7_ISA_SB_Lm4ESD_lEESH_SB_Lm5ESD_lEEiiiii,comdat
.Lfunc_end46:
	.size	_ZN2at6native12_GLOBAL__N_132replication_pad_forward_kernel3dIfEEvN5torch10headeronly6detail27GenericPackedTensorAccessorINS5_14TensorAccessorIN3c108ArrayRefIlEEKT_Lm4ENS4_16DefaultPtrTraitsElEENS_6detail16IndexBoundsCheckILm5ElEESC_Lm5ESD_lEENS6_INS7_ISA_SB_Lm4ESD_lEESH_SB_Lm5ESD_lEEiiiii, .Lfunc_end46-_ZN2at6native12_GLOBAL__N_132replication_pad_forward_kernel3dIfEEvN5torch10headeronly6detail27GenericPackedTensorAccessorINS5_14TensorAccessorIN3c108ArrayRefIlEEKT_Lm4ENS4_16DefaultPtrTraitsElEENS_6detail16IndexBoundsCheckILm5ElEESC_Lm5ESD_lEENS6_INS7_ISA_SB_Lm4ESD_lEESH_SB_Lm5ESD_lEEiiiii
                                        ; -- End function
	.set _ZN2at6native12_GLOBAL__N_132replication_pad_forward_kernel3dIfEEvN5torch10headeronly6detail27GenericPackedTensorAccessorINS5_14TensorAccessorIN3c108ArrayRefIlEEKT_Lm4ENS4_16DefaultPtrTraitsElEENS_6detail16IndexBoundsCheckILm5ElEESC_Lm5ESD_lEENS6_INS7_ISA_SB_Lm4ESD_lEESH_SB_Lm5ESD_lEEiiiii.num_vgpr, 22
	.set _ZN2at6native12_GLOBAL__N_132replication_pad_forward_kernel3dIfEEvN5torch10headeronly6detail27GenericPackedTensorAccessorINS5_14TensorAccessorIN3c108ArrayRefIlEEKT_Lm4ENS4_16DefaultPtrTraitsElEENS_6detail16IndexBoundsCheckILm5ElEESC_Lm5ESD_lEENS6_INS7_ISA_SB_Lm4ESD_lEESH_SB_Lm5ESD_lEEiiiii.num_agpr, 0
	.set _ZN2at6native12_GLOBAL__N_132replication_pad_forward_kernel3dIfEEvN5torch10headeronly6detail27GenericPackedTensorAccessorINS5_14TensorAccessorIN3c108ArrayRefIlEEKT_Lm4ENS4_16DefaultPtrTraitsElEENS_6detail16IndexBoundsCheckILm5ElEESC_Lm5ESD_lEENS6_INS7_ISA_SB_Lm4ESD_lEESH_SB_Lm5ESD_lEEiiiii.numbered_sgpr, 29
	.set _ZN2at6native12_GLOBAL__N_132replication_pad_forward_kernel3dIfEEvN5torch10headeronly6detail27GenericPackedTensorAccessorINS5_14TensorAccessorIN3c108ArrayRefIlEEKT_Lm4ENS4_16DefaultPtrTraitsElEENS_6detail16IndexBoundsCheckILm5ElEESC_Lm5ESD_lEENS6_INS7_ISA_SB_Lm4ESD_lEESH_SB_Lm5ESD_lEEiiiii.num_named_barrier, 0
	.set _ZN2at6native12_GLOBAL__N_132replication_pad_forward_kernel3dIfEEvN5torch10headeronly6detail27GenericPackedTensorAccessorINS5_14TensorAccessorIN3c108ArrayRefIlEEKT_Lm4ENS4_16DefaultPtrTraitsElEENS_6detail16IndexBoundsCheckILm5ElEESC_Lm5ESD_lEENS6_INS7_ISA_SB_Lm4ESD_lEESH_SB_Lm5ESD_lEEiiiii.private_seg_size, 0
	.set _ZN2at6native12_GLOBAL__N_132replication_pad_forward_kernel3dIfEEvN5torch10headeronly6detail27GenericPackedTensorAccessorINS5_14TensorAccessorIN3c108ArrayRefIlEEKT_Lm4ENS4_16DefaultPtrTraitsElEENS_6detail16IndexBoundsCheckILm5ElEESC_Lm5ESD_lEENS6_INS7_ISA_SB_Lm4ESD_lEESH_SB_Lm5ESD_lEEiiiii.uses_vcc, 1
	.set _ZN2at6native12_GLOBAL__N_132replication_pad_forward_kernel3dIfEEvN5torch10headeronly6detail27GenericPackedTensorAccessorINS5_14TensorAccessorIN3c108ArrayRefIlEEKT_Lm4ENS4_16DefaultPtrTraitsElEENS_6detail16IndexBoundsCheckILm5ElEESC_Lm5ESD_lEENS6_INS7_ISA_SB_Lm4ESD_lEESH_SB_Lm5ESD_lEEiiiii.uses_flat_scratch, 0
	.set _ZN2at6native12_GLOBAL__N_132replication_pad_forward_kernel3dIfEEvN5torch10headeronly6detail27GenericPackedTensorAccessorINS5_14TensorAccessorIN3c108ArrayRefIlEEKT_Lm4ENS4_16DefaultPtrTraitsElEENS_6detail16IndexBoundsCheckILm5ElEESC_Lm5ESD_lEENS6_INS7_ISA_SB_Lm4ESD_lEESH_SB_Lm5ESD_lEEiiiii.has_dyn_sized_stack, 0
	.set _ZN2at6native12_GLOBAL__N_132replication_pad_forward_kernel3dIfEEvN5torch10headeronly6detail27GenericPackedTensorAccessorINS5_14TensorAccessorIN3c108ArrayRefIlEEKT_Lm4ENS4_16DefaultPtrTraitsElEENS_6detail16IndexBoundsCheckILm5ElEESC_Lm5ESD_lEENS6_INS7_ISA_SB_Lm4ESD_lEESH_SB_Lm5ESD_lEEiiiii.has_recursion, 0
	.set _ZN2at6native12_GLOBAL__N_132replication_pad_forward_kernel3dIfEEvN5torch10headeronly6detail27GenericPackedTensorAccessorINS5_14TensorAccessorIN3c108ArrayRefIlEEKT_Lm4ENS4_16DefaultPtrTraitsElEENS_6detail16IndexBoundsCheckILm5ElEESC_Lm5ESD_lEENS6_INS7_ISA_SB_Lm4ESD_lEESH_SB_Lm5ESD_lEEiiiii.has_indirect_call, 0
	.section	.AMDGPU.csdata,"",@progbits
; Kernel info:
; codeLenInByte = 2900
; TotalNumSgprs: 31
; NumVgprs: 22
; ScratchSize: 0
; MemoryBound: 0
; FloatMode: 240
; IeeeMode: 1
; LDSByteSize: 0 bytes/workgroup (compile time only)
; SGPRBlocks: 0
; VGPRBlocks: 1
; NumSGPRsForWavesPerEU: 31
; NumVGPRsForWavesPerEU: 22
; NamedBarCnt: 0
; Occupancy: 16
; WaveLimiterHint : 1
; COMPUTE_PGM_RSRC2:SCRATCH_EN: 0
; COMPUTE_PGM_RSRC2:USER_SGPR: 2
; COMPUTE_PGM_RSRC2:TRAP_HANDLER: 0
; COMPUTE_PGM_RSRC2:TGID_X_EN: 1
; COMPUTE_PGM_RSRC2:TGID_Y_EN: 1
; COMPUTE_PGM_RSRC2:TGID_Z_EN: 1
; COMPUTE_PGM_RSRC2:TIDIG_COMP_CNT: 0
	.section	.text._ZN2at6native12_GLOBAL__N_132replication_pad_forward_kernel3dIN3c107complexIdEEEEvN5torch10headeronly6detail27GenericPackedTensorAccessorINS8_14TensorAccessorINS3_8ArrayRefIlEEKT_Lm4ENS7_16DefaultPtrTraitsElEENS_6detail16IndexBoundsCheckILm5ElEESE_Lm5ESF_lEENS9_INSA_ISC_SD_Lm4ESF_lEESJ_SD_Lm5ESF_lEEiiiii,"axG",@progbits,_ZN2at6native12_GLOBAL__N_132replication_pad_forward_kernel3dIN3c107complexIdEEEEvN5torch10headeronly6detail27GenericPackedTensorAccessorINS8_14TensorAccessorINS3_8ArrayRefIlEEKT_Lm4ENS7_16DefaultPtrTraitsElEENS_6detail16IndexBoundsCheckILm5ElEESE_Lm5ESF_lEENS9_INSA_ISC_SD_Lm4ESF_lEESJ_SD_Lm5ESF_lEEiiiii,comdat
	.globl	_ZN2at6native12_GLOBAL__N_132replication_pad_forward_kernel3dIN3c107complexIdEEEEvN5torch10headeronly6detail27GenericPackedTensorAccessorINS8_14TensorAccessorINS3_8ArrayRefIlEEKT_Lm4ENS7_16DefaultPtrTraitsElEENS_6detail16IndexBoundsCheckILm5ElEESE_Lm5ESF_lEENS9_INSA_ISC_SD_Lm4ESF_lEESJ_SD_Lm5ESF_lEEiiiii ; -- Begin function _ZN2at6native12_GLOBAL__N_132replication_pad_forward_kernel3dIN3c107complexIdEEEEvN5torch10headeronly6detail27GenericPackedTensorAccessorINS8_14TensorAccessorINS3_8ArrayRefIlEEKT_Lm4ENS7_16DefaultPtrTraitsElEENS_6detail16IndexBoundsCheckILm5ElEESE_Lm5ESF_lEENS9_INSA_ISC_SD_Lm4ESF_lEESJ_SD_Lm5ESF_lEEiiiii
	.p2align	8
	.type	_ZN2at6native12_GLOBAL__N_132replication_pad_forward_kernel3dIN3c107complexIdEEEEvN5torch10headeronly6detail27GenericPackedTensorAccessorINS8_14TensorAccessorINS3_8ArrayRefIlEEKT_Lm4ENS7_16DefaultPtrTraitsElEENS_6detail16IndexBoundsCheckILm5ElEESE_Lm5ESF_lEENS9_INSA_ISC_SD_Lm4ESF_lEESJ_SD_Lm5ESF_lEEiiiii,@function
_ZN2at6native12_GLOBAL__N_132replication_pad_forward_kernel3dIN3c107complexIdEEEEvN5torch10headeronly6detail27GenericPackedTensorAccessorINS8_14TensorAccessorINS3_8ArrayRefIlEEKT_Lm4ENS7_16DefaultPtrTraitsElEENS_6detail16IndexBoundsCheckILm5ElEESE_Lm5ESF_lEENS9_INSA_ISC_SD_Lm4ESF_lEESJ_SD_Lm5ESF_lEEiiiii: ; @_ZN2at6native12_GLOBAL__N_132replication_pad_forward_kernel3dIN3c107complexIdEEEEvN5torch10headeronly6detail27GenericPackedTensorAccessorINS8_14TensorAccessorINS3_8ArrayRefIlEEKT_Lm4ENS7_16DefaultPtrTraitsElEENS_6detail16IndexBoundsCheckILm5ElEESE_Lm5ESF_lEENS9_INSA_ISC_SD_Lm4ESF_lEESJ_SD_Lm5ESF_lEEiiiii
; %bb.0:
	s_load_b32 s2, s[0:1], 0xd4
	s_bfe_u32 s4, ttmp6, 0x4000c
	s_and_b32 s10, ttmp6, 15
	s_add_co_i32 s11, s4, 1
	s_clause 0x1
	s_load_b128 s[4:7], s[0:1], 0x70
	s_load_b64 s[8:9], s[0:1], 0x80
	s_mul_i32 s11, ttmp9, s11
	s_getreg_b32 s3, hwreg(HW_REG_IB_STS2, 6, 4)
	s_add_co_i32 s10, s10, s11
	s_wait_kmcnt 0x0
	s_and_b32 s2, s2, 0xffff
	s_cmp_eq_u32 s3, 0
	s_cselect_b32 s10, ttmp9, s10
	s_delay_alu instid0(SALU_CYCLE_1) | instskip(SKIP_3) | instid1(VALU_DEP_1)
	v_mad_u32 v0, s10, s2, v0
	s_mul_u64 s[10:11], s[8:9], s[6:7]
	s_mov_b32 s2, exec_lo
	s_mul_u64 s[4:5], s[10:11], s[4:5]
	v_ashrrev_i32_e32 v1, 31, v0
	s_delay_alu instid0(VALU_DEP_1)
	v_cmpx_gt_i64_e64 s[4:5], v[0:1]
	s_cbranch_execz .LBB47_14
; %bb.1:
	v_dual_mov_b32 v6, 0 :: v_dual_bitop2_b32 v7, s9, v1 bitop3:0x54
	v_ashrrev_i32_e32 v2, 31, v1
                                        ; implicit-def: $vgpr4_vgpr5
	s_mov_b32 s2, exec_lo
	s_delay_alu instid0(VALU_DEP_2)
	v_cmpx_ne_u64_e32 0, v[6:7]
	s_xor_b32 s14, exec_lo, s2
	s_cbranch_execz .LBB47_3
; %bb.2:
	s_ashr_i32 s4, s9, 31
	s_mov_b32 s23, 0
	s_mov_b32 s5, s4
	v_dual_mov_b32 v3, v2 :: v_dual_mov_b32 v9, v6
	s_add_nc_u64 s[12:13], s[8:9], s[4:5]
	v_mov_b32_e32 v7, v6
	s_xor_b64 s[12:13], s[12:13], s[4:5]
	s_delay_alu instid0(VALU_DEP_2) | instskip(SKIP_4) | instid1(SALU_CYCLE_1)
	v_add_nc_u64_e32 v[4:5], v[0:1], v[2:3]
	s_cvt_f32_u32 s2, s12
	s_cvt_f32_u32 s5, s13
	s_sub_nc_u64 s[18:19], 0, s[12:13]
	v_dual_mov_b32 v11, v6 :: v_dual_mov_b32 v17, v6
	s_fmamk_f32 s2, s5, 0x4f800000, s2
	s_delay_alu instid0(VALU_DEP_2) | instskip(SKIP_1) | instid1(SALU_CYCLE_1)
	v_xor_b32_e32 v8, v4, v2
	v_xor_b32_e32 v10, v5, v2
	v_s_rcp_f32 s2, s2
	s_delay_alu instid0(TRANS32_DEP_1) | instskip(NEXT) | instid1(SALU_CYCLE_3)
	s_mul_f32 s2, s2, 0x5f7ffffc
	s_mul_f32 s5, s2, 0x2f800000
	s_delay_alu instid0(SALU_CYCLE_3) | instskip(NEXT) | instid1(SALU_CYCLE_3)
	s_trunc_f32 s5, s5
	s_fmamk_f32 s2, s5, 0xcf800000, s2
	s_cvt_u32_f32 s17, s5
	s_delay_alu instid0(SALU_CYCLE_2) | instskip(NEXT) | instid1(SALU_CYCLE_3)
	s_cvt_u32_f32 s16, s2
	s_mul_u64 s[20:21], s[18:19], s[16:17]
	s_delay_alu instid0(SALU_CYCLE_1)
	s_mul_hi_u32 s25, s16, s21
	s_mul_i32 s24, s16, s21
	s_mul_hi_u32 s22, s16, s20
	s_mul_i32 s5, s17, s20
	s_add_nc_u64 s[24:25], s[22:23], s[24:25]
	s_mul_hi_u32 s2, s17, s20
	s_mul_hi_u32 s15, s17, s21
	s_add_co_u32 s5, s24, s5
	s_add_co_ci_u32 s22, s25, s2
	s_mul_i32 s20, s17, s21
	s_add_co_ci_u32 s21, s15, 0
	s_delay_alu instid0(SALU_CYCLE_1) | instskip(NEXT) | instid1(SALU_CYCLE_1)
	s_add_nc_u64 s[20:21], s[22:23], s[20:21]
	s_add_co_u32 s16, s16, s20
	s_cselect_b32 s2, -1, 0
	s_delay_alu instid0(SALU_CYCLE_1) | instskip(SKIP_1) | instid1(SALU_CYCLE_1)
	s_cmp_lg_u32 s2, 0
	s_add_co_ci_u32 s17, s17, s21
	s_mul_u64 s[18:19], s[18:19], s[16:17]
	s_delay_alu instid0(SALU_CYCLE_1)
	s_mul_hi_u32 s21, s16, s19
	s_mul_i32 s20, s16, s19
	s_mul_hi_u32 s22, s16, s18
	s_mul_i32 s5, s17, s18
	s_add_nc_u64 s[20:21], s[22:23], s[20:21]
	s_mul_hi_u32 s2, s17, s18
	s_mul_hi_u32 s15, s17, s19
	s_add_co_u32 s5, s20, s5
	s_add_co_ci_u32 s22, s21, s2
	s_mul_i32 s18, s17, s19
	s_add_co_ci_u32 s19, s15, 0
	s_delay_alu instid0(SALU_CYCLE_1) | instskip(NEXT) | instid1(SALU_CYCLE_1)
	s_add_nc_u64 s[18:19], s[22:23], s[18:19]
	s_add_co_u32 s2, s16, s18
	s_cselect_b32 s5, -1, 0
	v_nop
	v_mul_hi_u32 v16, v8, s2
	s_cmp_lg_u32 s5, 0
	s_add_co_ci_u32 s22, s17, s19
	s_mov_b64 s[16:17], 0xffffffff
	v_mul_u64_e32 v[12:13], s[22:23], v[8:9]
	s_and_b64 s[16:17], s[2:3], s[16:17]
	v_mul_u64_e32 v[14:15], s[22:23], v[10:11]
	v_mul_u64_e32 v[4:5], s[16:17], v[10:11]
	s_delay_alu instid0(VALU_DEP_3) | instskip(NEXT) | instid1(VALU_DEP_1)
	v_add_nc_u64_e32 v[12:13], v[16:17], v[12:13]
	v_add_co_u32 v3, vcc_lo, v12, v4
	s_delay_alu instid0(VALU_DEP_2) | instskip(SKIP_1) | instid1(VALU_DEP_1)
	v_add_co_ci_u32_e32 v6, vcc_lo, v13, v5, vcc_lo
	v_add_co_ci_u32_e32 v15, vcc_lo, 0, v15, vcc_lo
	v_add_nc_u64_e32 v[4:5], v[6:7], v[14:15]
	s_delay_alu instid0(VALU_DEP_1) | instskip(NEXT) | instid1(VALU_DEP_1)
	v_mul_u64_e32 v[6:7], s[12:13], v[4:5]
	v_sub_nc_u32_e32 v3, v10, v7
	s_delay_alu instid0(VALU_DEP_2) | instskip(NEXT) | instid1(VALU_DEP_1)
	v_sub_co_u32 v6, vcc_lo, v8, v6
	v_sub_co_ci_u32_e64 v10, null, v10, v7, vcc_lo
	s_delay_alu instid0(VALU_DEP_3) | instskip(NEXT) | instid1(VALU_DEP_3)
	v_subrev_co_ci_u32_e64 v3, null, s13, v3, vcc_lo
	v_sub_co_u32 v8, s2, v6, s12
	s_delay_alu instid0(VALU_DEP_1) | instskip(NEXT) | instid1(VALU_DEP_2)
	v_subrev_co_ci_u32_e64 v3, null, 0, v3, s2
	v_cmp_le_u32_e32 vcc_lo, s12, v8
	v_cndmask_b32_e64 v7, 0, -1, vcc_lo
	s_delay_alu instid0(VALU_DEP_3)
	v_cmp_le_u32_e32 vcc_lo, s13, v3
	v_cndmask_b32_e64 v8, 0, -1, vcc_lo
	v_cmp_le_u32_e32 vcc_lo, s12, v6
	v_cndmask_b32_e64 v11, 0, -1, vcc_lo
	;; [unrolled: 2-line block ×3, first 2 shown]
	v_cmp_eq_u32_e32 vcc_lo, s13, v3
	v_cndmask_b32_e32 v3, v8, v7, vcc_lo
	v_cmp_eq_u32_e32 vcc_lo, s13, v10
	v_add_nc_u64_e32 v[6:7], 2, v[4:5]
	v_add_nc_u64_e32 v[8:9], 1, v[4:5]
	v_cndmask_b32_e32 v10, v12, v11, vcc_lo
	v_cmp_ne_u32_e32 vcc_lo, 0, v3
	s_delay_alu instid0(VALU_DEP_2) | instskip(NEXT) | instid1(VALU_DEP_4)
	v_cmp_ne_u32_e64 s2, 0, v10
	v_dual_cndmask_b32 v3, v9, v7, vcc_lo :: v_dual_cndmask_b32 v7, v8, v6, vcc_lo
	s_delay_alu instid0(VALU_DEP_1) | instskip(NEXT) | instid1(VALU_DEP_1)
	v_dual_cndmask_b32 v4, v4, v7, s2 :: v_dual_bitop2_b32 v6, s4, v2 bitop3:0x14
	v_dual_cndmask_b32 v3, v5, v3, s2 :: v_dual_mov_b32 v7, v6
	s_delay_alu instid0(VALU_DEP_2) | instskip(NEXT) | instid1(VALU_DEP_2)
	v_xor_b32_e32 v4, v4, v6
	v_xor_b32_e32 v5, v3, v6
	s_delay_alu instid0(VALU_DEP_1)
	v_sub_nc_u64_e32 v[4:5], v[4:5], v[6:7]
.LBB47_3:
	s_and_not1_saveexec_b32 s2, s14
	s_cbranch_execz .LBB47_5
; %bb.4:
	v_cvt_f32_u32_e32 v3, s8
	s_sub_co_i32 s4, 0, s8
	s_delay_alu instid0(VALU_DEP_1) | instskip(SKIP_1) | instid1(TRANS32_DEP_1)
	v_rcp_iflag_f32_e32 v3, v3
	v_nop
	v_mul_f32_e32 v3, 0x4f7ffffe, v3
	s_delay_alu instid0(VALU_DEP_1) | instskip(NEXT) | instid1(VALU_DEP_1)
	v_cvt_u32_f32_e32 v3, v3
	v_mul_lo_u32 v4, s4, v3
	s_delay_alu instid0(VALU_DEP_1) | instskip(NEXT) | instid1(VALU_DEP_1)
	v_mul_hi_u32 v4, v3, v4
	v_add_nc_u32_e32 v3, v3, v4
	s_delay_alu instid0(VALU_DEP_1) | instskip(NEXT) | instid1(VALU_DEP_1)
	v_mul_hi_u32 v3, v0, v3
	v_mul_lo_u32 v4, v3, s8
	s_delay_alu instid0(VALU_DEP_1) | instskip(NEXT) | instid1(VALU_DEP_1)
	v_dual_add_nc_u32 v5, 1, v3 :: v_dual_sub_nc_u32 v4, v0, v4
	v_subrev_nc_u32_e32 v6, s8, v4
	v_cmp_le_u32_e32 vcc_lo, s8, v4
	s_delay_alu instid0(VALU_DEP_2) | instskip(NEXT) | instid1(VALU_DEP_1)
	v_dual_cndmask_b32 v4, v4, v6 :: v_dual_cndmask_b32 v3, v3, v5
	v_cmp_le_u32_e32 vcc_lo, s8, v4
	s_delay_alu instid0(VALU_DEP_2) | instskip(NEXT) | instid1(VALU_DEP_1)
	v_add_nc_u32_e32 v5, 1, v3
	v_dual_cndmask_b32 v4, v3, v5 :: v_dual_mov_b32 v5, 0
.LBB47_5:
	s_or_b32 exec_lo, exec_lo, s2
	s_delay_alu instid0(VALU_DEP_1) | instskip(SKIP_1) | instid1(VALU_DEP_1)
	v_dual_mov_b32 v8, 0 :: v_dual_bitop2_b32 v9, s7, v5 bitop3:0x54
                                        ; implicit-def: $vgpr6_vgpr7
	s_mov_b32 s2, exec_lo
	v_cmpx_ne_u64_e32 0, v[8:9]
	s_xor_b32 s12, exec_lo, s2
	s_cbranch_execz .LBB47_7
; %bb.6:
	s_ashr_i32 s4, s7, 31
	s_mov_b32 s21, 0
	s_mov_b32 s5, s4
	v_dual_mov_b32 v13, v8 :: v_dual_ashrrev_i32 v6, 31, v5
	s_add_nc_u64 s[14:15], s[6:7], s[4:5]
	v_mov_b32_e32 v15, v8
	s_xor_b64 s[4:5], s[14:15], s[4:5]
	s_delay_alu instid0(VALU_DEP_2)
	v_mov_b32_e32 v7, v6
	s_cvt_f32_u32 s2, s4
	s_cvt_f32_u32 s7, s5
	s_sub_nc_u64 s[16:17], 0, s[4:5]
	v_mov_b32_e32 v21, v8
	v_add_nc_u64_e32 v[10:11], v[4:5], v[6:7]
	s_fmamk_f32 s2, s7, 0x4f800000, s2
	v_mov_b32_e32 v9, v8
	s_delay_alu instid0(SALU_CYCLE_2) | instskip(NEXT) | instid1(VALU_DEP_2)
	v_s_rcp_f32 s2, s2
	v_xor_b32_e32 v12, v10, v6
	s_delay_alu instid0(VALU_DEP_3) | instskip(NEXT) | instid1(TRANS32_DEP_1)
	v_xor_b32_e32 v14, v11, v6
	s_mul_f32 s2, s2, 0x5f7ffffc
	s_delay_alu instid0(SALU_CYCLE_3) | instskip(NEXT) | instid1(SALU_CYCLE_3)
	s_mul_f32 s7, s2, 0x2f800000
	s_trunc_f32 s7, s7
	s_delay_alu instid0(SALU_CYCLE_3) | instskip(SKIP_1) | instid1(SALU_CYCLE_2)
	s_fmamk_f32 s2, s7, 0xcf800000, s2
	s_cvt_u32_f32 s15, s7
	s_cvt_u32_f32 s14, s2
	s_delay_alu instid0(SALU_CYCLE_3) | instskip(NEXT) | instid1(SALU_CYCLE_1)
	s_mul_u64 s[18:19], s[16:17], s[14:15]
	s_mul_hi_u32 s23, s14, s19
	s_mul_i32 s22, s14, s19
	s_mul_hi_u32 s20, s14, s18
	s_mul_i32 s7, s15, s18
	s_add_nc_u64 s[22:23], s[20:21], s[22:23]
	s_mul_hi_u32 s2, s15, s18
	s_mul_hi_u32 s13, s15, s19
	s_add_co_u32 s7, s22, s7
	s_add_co_ci_u32 s20, s23, s2
	s_mul_i32 s18, s15, s19
	s_add_co_ci_u32 s19, s13, 0
	s_delay_alu instid0(SALU_CYCLE_1) | instskip(NEXT) | instid1(SALU_CYCLE_1)
	s_add_nc_u64 s[18:19], s[20:21], s[18:19]
	s_add_co_u32 s14, s14, s18
	s_cselect_b32 s2, -1, 0
	s_delay_alu instid0(SALU_CYCLE_1) | instskip(SKIP_1) | instid1(SALU_CYCLE_1)
	s_cmp_lg_u32 s2, 0
	s_add_co_ci_u32 s15, s15, s19
	s_mul_u64 s[16:17], s[16:17], s[14:15]
	s_delay_alu instid0(SALU_CYCLE_1)
	s_mul_hi_u32 s19, s14, s17
	s_mul_i32 s18, s14, s17
	s_mul_hi_u32 s20, s14, s16
	s_mul_i32 s7, s15, s16
	s_add_nc_u64 s[18:19], s[20:21], s[18:19]
	s_mul_hi_u32 s2, s15, s16
	s_mul_hi_u32 s13, s15, s17
	s_add_co_u32 s7, s18, s7
	s_add_co_ci_u32 s20, s19, s2
	s_mul_i32 s16, s15, s17
	s_add_co_ci_u32 s17, s13, 0
	s_delay_alu instid0(SALU_CYCLE_1) | instskip(NEXT) | instid1(SALU_CYCLE_1)
	s_add_nc_u64 s[16:17], s[20:21], s[16:17]
	s_add_co_u32 s2, s14, s16
	s_cselect_b32 s7, -1, 0
	v_mul_hi_u32 v20, v12, s2
	s_cmp_lg_u32 s7, 0
	s_add_co_ci_u32 s20, s15, s17
	s_mov_b64 s[14:15], 0xffffffff
	v_mul_u64_e32 v[16:17], s[20:21], v[12:13]
	s_and_b64 s[14:15], s[2:3], s[14:15]
	v_mul_u64_e32 v[18:19], s[20:21], v[14:15]
	v_mul_u64_e32 v[10:11], s[14:15], v[14:15]
	s_delay_alu instid0(VALU_DEP_3) | instskip(NEXT) | instid1(VALU_DEP_1)
	v_add_nc_u64_e32 v[16:17], v[20:21], v[16:17]
	v_add_co_u32 v3, vcc_lo, v16, v10
	s_delay_alu instid0(VALU_DEP_2) | instskip(SKIP_1) | instid1(VALU_DEP_1)
	v_add_co_ci_u32_e32 v8, vcc_lo, v17, v11, vcc_lo
	v_add_co_ci_u32_e32 v19, vcc_lo, 0, v19, vcc_lo
	v_add_nc_u64_e32 v[8:9], v[8:9], v[18:19]
	s_delay_alu instid0(VALU_DEP_1) | instskip(NEXT) | instid1(VALU_DEP_1)
	v_mul_u64_e32 v[8:9], s[4:5], v[8:9]
	v_sub_co_u32 v8, vcc_lo, v12, v8
	s_delay_alu instid0(VALU_DEP_1) | instskip(NEXT) | instid1(VALU_DEP_1)
	v_cmp_le_u32_e64 s2, s4, v8
	v_cndmask_b32_e64 v12, 0, -1, s2
	s_delay_alu instid0(VALU_DEP_4) | instskip(SKIP_1) | instid1(VALU_DEP_2)
	v_sub_nc_u32_e32 v3, v14, v9
	v_sub_co_ci_u32_e64 v9, null, v14, v9, vcc_lo
	v_subrev_co_ci_u32_e64 v3, null, s5, v3, vcc_lo
	v_sub_co_u32 v10, vcc_lo, v8, s4
	s_delay_alu instid0(VALU_DEP_1) | instskip(NEXT) | instid1(VALU_DEP_2)
	v_subrev_co_ci_u32_e64 v11, null, 0, v3, vcc_lo
	v_cmp_le_u32_e64 s2, s4, v10
	v_subrev_co_ci_u32_e64 v3, null, s5, v3, vcc_lo
	v_cmp_le_u32_e32 vcc_lo, s5, v9
	s_delay_alu instid0(VALU_DEP_3) | instskip(SKIP_3) | instid1(VALU_DEP_3)
	v_cndmask_b32_e64 v13, 0, -1, s2
	v_cmp_le_u32_e64 s2, s5, v11
	v_cndmask_b32_e64 v15, 0, -1, vcc_lo
	v_cmp_eq_u32_e32 vcc_lo, s5, v11
	v_cndmask_b32_e64 v14, 0, -1, s2
	v_cmp_eq_u32_e64 s2, s5, v9
	s_delay_alu instid0(VALU_DEP_2) | instskip(SKIP_1) | instid1(VALU_DEP_1)
	v_cndmask_b32_e32 v13, v14, v13, vcc_lo
	v_sub_co_u32 v14, vcc_lo, v10, s4
	v_subrev_co_ci_u32_e64 v3, null, 0, v3, vcc_lo
	s_delay_alu instid0(VALU_DEP_3) | instskip(SKIP_1) | instid1(VALU_DEP_3)
	v_cmp_ne_u32_e32 vcc_lo, 0, v13
	v_cndmask_b32_e64 v12, v15, v12, s2
	v_dual_cndmask_b32 v3, v11, v3 :: v_dual_cndmask_b32 v10, v10, v14
	s_delay_alu instid0(VALU_DEP_2) | instskip(NEXT) | instid1(VALU_DEP_2)
	v_cmp_ne_u32_e32 vcc_lo, 0, v12
	v_dual_cndmask_b32 v3, v9, v3 :: v_dual_cndmask_b32 v8, v8, v10
	s_delay_alu instid0(VALU_DEP_1) | instskip(NEXT) | instid1(VALU_DEP_2)
	v_xor_b32_e32 v9, v3, v6
	v_xor_b32_e32 v8, v8, v6
	s_delay_alu instid0(VALU_DEP_1)
	v_sub_nc_u64_e32 v[6:7], v[8:9], v[6:7]
.LBB47_7:
	s_and_not1_saveexec_b32 s2, s12
	s_cbranch_execz .LBB47_9
; %bb.8:
	v_cvt_f32_u32_e32 v3, s6
	s_sub_co_i32 s4, 0, s6
	s_delay_alu instid0(VALU_DEP_1) | instskip(SKIP_1) | instid1(TRANS32_DEP_1)
	v_rcp_iflag_f32_e32 v3, v3
	v_nop
	v_mul_f32_e32 v3, 0x4f7ffffe, v3
	s_delay_alu instid0(VALU_DEP_1) | instskip(NEXT) | instid1(VALU_DEP_1)
	v_cvt_u32_f32_e32 v3, v3
	v_mul_lo_u32 v6, s4, v3
	s_delay_alu instid0(VALU_DEP_1) | instskip(NEXT) | instid1(VALU_DEP_1)
	v_mul_hi_u32 v6, v3, v6
	v_add_nc_u32_e32 v3, v3, v6
	s_delay_alu instid0(VALU_DEP_1) | instskip(NEXT) | instid1(VALU_DEP_1)
	v_mul_hi_u32 v3, v4, v3
	v_mul_lo_u32 v3, v3, s6
	s_delay_alu instid0(VALU_DEP_1) | instskip(NEXT) | instid1(VALU_DEP_1)
	v_sub_nc_u32_e32 v3, v4, v3
	v_subrev_nc_u32_e32 v6, s6, v3
	v_cmp_le_u32_e32 vcc_lo, s6, v3
	s_delay_alu instid0(VALU_DEP_2) | instskip(NEXT) | instid1(VALU_DEP_1)
	v_cndmask_b32_e32 v3, v3, v6, vcc_lo
	v_subrev_nc_u32_e32 v6, s6, v3
	v_cmp_le_u32_e32 vcc_lo, s6, v3
	s_delay_alu instid0(VALU_DEP_2)
	v_cndmask_b32_e32 v6, v3, v6, vcc_lo
.LBB47_9:
	s_or_b32 exec_lo, exec_lo, s2
	v_dual_mov_b32 v10, 0 :: v_dual_bitop2_b32 v11, s11, v1 bitop3:0x54
                                        ; implicit-def: $vgpr8_vgpr9
	s_mov_b32 s2, exec_lo
	s_delay_alu instid0(VALU_DEP_1)
	v_cmpx_ne_u64_e32 0, v[10:11]
	s_xor_b32 s12, exec_lo, s2
	s_cbranch_execz .LBB47_11
; %bb.10:
	s_ashr_i32 s4, s11, 31
	s_mov_b32 s21, 0
	s_mov_b32 s5, s4
	v_dual_mov_b32 v3, v2 :: v_dual_mov_b32 v13, v10
	s_add_nc_u64 s[6:7], s[10:11], s[4:5]
	v_mov_b32_e32 v11, v10
	s_xor_b64 s[6:7], s[6:7], s[4:5]
	s_delay_alu instid0(VALU_DEP_2) | instskip(SKIP_4) | instid1(SALU_CYCLE_1)
	v_add_nc_u64_e32 v[8:9], v[0:1], v[2:3]
	s_cvt_f32_u32 s2, s6
	s_cvt_f32_u32 s5, s7
	s_sub_nc_u64 s[16:17], 0, s[6:7]
	v_dual_mov_b32 v15, v10 :: v_dual_mov_b32 v21, v10
	s_fmamk_f32 s2, s5, 0x4f800000, s2
	s_delay_alu instid0(VALU_DEP_2) | instskip(SKIP_3) | instid1(TRANS32_DEP_1)
	v_xor_b32_e32 v12, v8, v2
	v_xor_b32_e32 v14, v9, v2
	;; [unrolled: 1-line block ×3, first 2 shown]
	v_s_rcp_f32 s2, s2
	s_mul_f32 s2, s2, 0x5f7ffffc
	s_delay_alu instid0(SALU_CYCLE_3) | instskip(NEXT) | instid1(SALU_CYCLE_3)
	s_mul_f32 s5, s2, 0x2f800000
	s_trunc_f32 s5, s5
	s_delay_alu instid0(SALU_CYCLE_3) | instskip(SKIP_1) | instid1(SALU_CYCLE_2)
	s_fmamk_f32 s2, s5, 0xcf800000, s2
	s_cvt_u32_f32 s15, s5
	s_cvt_u32_f32 s14, s2
	s_delay_alu instid0(SALU_CYCLE_3) | instskip(NEXT) | instid1(SALU_CYCLE_1)
	s_mul_u64 s[18:19], s[16:17], s[14:15]
	s_mul_hi_u32 s23, s14, s19
	s_mul_i32 s22, s14, s19
	s_mul_hi_u32 s20, s14, s18
	s_mul_i32 s5, s15, s18
	s_add_nc_u64 s[22:23], s[20:21], s[22:23]
	s_mul_hi_u32 s2, s15, s18
	s_mul_hi_u32 s11, s15, s19
	s_add_co_u32 s5, s22, s5
	s_add_co_ci_u32 s20, s23, s2
	s_mul_i32 s18, s15, s19
	s_add_co_ci_u32 s19, s11, 0
	s_delay_alu instid0(SALU_CYCLE_1) | instskip(NEXT) | instid1(SALU_CYCLE_1)
	s_add_nc_u64 s[18:19], s[20:21], s[18:19]
	s_add_co_u32 s14, s14, s18
	s_cselect_b32 s2, -1, 0
	s_delay_alu instid0(SALU_CYCLE_1) | instskip(SKIP_1) | instid1(SALU_CYCLE_1)
	s_cmp_lg_u32 s2, 0
	s_add_co_ci_u32 s15, s15, s19
	s_mul_u64 s[16:17], s[16:17], s[14:15]
	s_delay_alu instid0(SALU_CYCLE_1)
	s_mul_hi_u32 s19, s14, s17
	s_mul_i32 s18, s14, s17
	s_mul_hi_u32 s20, s14, s16
	s_mul_i32 s5, s15, s16
	s_add_nc_u64 s[18:19], s[20:21], s[18:19]
	s_mul_hi_u32 s2, s15, s16
	s_mul_hi_u32 s11, s15, s17
	s_add_co_u32 s5, s18, s5
	s_add_co_ci_u32 s20, s19, s2
	s_mul_i32 s16, s15, s17
	s_add_co_ci_u32 s17, s11, 0
	s_delay_alu instid0(SALU_CYCLE_1) | instskip(NEXT) | instid1(SALU_CYCLE_1)
	s_add_nc_u64 s[16:17], s[20:21], s[16:17]
	s_add_co_u32 s2, s14, s16
	s_cselect_b32 s5, -1, 0
	v_nop
	v_mul_hi_u32 v20, v12, s2
	s_cmp_lg_u32 s5, 0
	s_add_co_ci_u32 s20, s15, s17
	s_mov_b64 s[14:15], 0xffffffff
	v_mul_u64_e32 v[16:17], s[20:21], v[12:13]
	s_and_b64 s[14:15], s[2:3], s[14:15]
	v_mul_u64_e32 v[18:19], s[20:21], v[14:15]
	v_mul_u64_e32 v[8:9], s[14:15], v[14:15]
	s_delay_alu instid0(VALU_DEP_3) | instskip(NEXT) | instid1(VALU_DEP_1)
	v_add_nc_u64_e32 v[16:17], v[20:21], v[16:17]
	v_add_co_u32 v3, vcc_lo, v16, v8
	s_delay_alu instid0(VALU_DEP_2) | instskip(SKIP_1) | instid1(VALU_DEP_1)
	v_add_co_ci_u32_e32 v10, vcc_lo, v17, v9, vcc_lo
	v_add_co_ci_u32_e32 v19, vcc_lo, 0, v19, vcc_lo
	v_add_nc_u64_e32 v[8:9], v[10:11], v[18:19]
	s_delay_alu instid0(VALU_DEP_1) | instskip(NEXT) | instid1(VALU_DEP_1)
	v_mul_u64_e32 v[10:11], s[6:7], v[8:9]
	v_sub_co_u32 v7, vcc_lo, v12, v10
	v_add_nc_u64_e32 v[12:13], 1, v[8:9]
	s_delay_alu instid0(VALU_DEP_3) | instskip(SKIP_1) | instid1(VALU_DEP_4)
	v_sub_nc_u32_e32 v3, v14, v11
	v_sub_co_ci_u32_e64 v14, null, v14, v11, vcc_lo
	v_sub_co_u32 v10, s2, v7, s6
	s_delay_alu instid0(VALU_DEP_3) | instskip(NEXT) | instid1(VALU_DEP_2)
	v_subrev_co_ci_u32_e64 v3, null, s7, v3, vcc_lo
	v_cmp_le_u32_e32 vcc_lo, s6, v10
	s_delay_alu instid0(VALU_DEP_2) | instskip(SKIP_1) | instid1(VALU_DEP_2)
	v_subrev_co_ci_u32_e64 v3, null, 0, v3, s2
	v_cndmask_b32_e64 v10, 0, -1, vcc_lo
	v_cmp_le_u32_e32 vcc_lo, s7, v3
	v_cndmask_b32_e64 v11, 0, -1, vcc_lo
	v_cmp_le_u32_e32 vcc_lo, s6, v7
	;; [unrolled: 2-line block ×3, first 2 shown]
	v_cndmask_b32_e64 v15, 0, -1, vcc_lo
	v_cmp_eq_u32_e32 vcc_lo, s7, v3
	v_cndmask_b32_e32 v3, v11, v10, vcc_lo
	v_cmp_eq_u32_e32 vcc_lo, s7, v14
	v_add_nc_u64_e32 v[10:11], 2, v[8:9]
	v_cndmask_b32_e32 v7, v15, v7, vcc_lo
	s_delay_alu instid0(VALU_DEP_4) | instskip(NEXT) | instid1(VALU_DEP_2)
	v_cmp_ne_u32_e32 vcc_lo, 0, v3
	v_cmp_ne_u32_e64 s2, 0, v7
	s_delay_alu instid0(VALU_DEP_4) | instskip(NEXT) | instid1(VALU_DEP_1)
	v_dual_cndmask_b32 v3, v13, v11, vcc_lo :: v_dual_cndmask_b32 v7, v12, v10, vcc_lo
	v_dual_cndmask_b32 v9, v9, v3, s2 :: v_dual_mov_b32 v3, v2
	s_delay_alu instid0(VALU_DEP_1) | instskip(NEXT) | instid1(VALU_DEP_1)
	v_dual_cndmask_b32 v7, v8, v7, s2 :: v_dual_bitop2_b32 v9, v9, v2 bitop3:0x14
	v_xor_b32_e32 v8, v7, v2
	s_delay_alu instid0(VALU_DEP_1)
	v_sub_nc_u64_e32 v[8:9], v[8:9], v[2:3]
.LBB47_11:
	s_and_not1_saveexec_b32 s2, s12
	s_cbranch_execz .LBB47_13
; %bb.12:
	v_cvt_f32_u32_e32 v2, s10
	s_sub_co_i32 s4, 0, s10
	s_delay_alu instid0(VALU_DEP_1) | instskip(SKIP_1) | instid1(TRANS32_DEP_1)
	v_rcp_iflag_f32_e32 v2, v2
	v_nop
	v_mul_f32_e32 v2, 0x4f7ffffe, v2
	s_delay_alu instid0(VALU_DEP_1) | instskip(NEXT) | instid1(VALU_DEP_1)
	v_cvt_u32_f32_e32 v2, v2
	v_mul_lo_u32 v3, s4, v2
	s_delay_alu instid0(VALU_DEP_1) | instskip(NEXT) | instid1(VALU_DEP_1)
	v_mul_hi_u32 v3, v2, v3
	v_add_nc_u32_e32 v2, v2, v3
	s_delay_alu instid0(VALU_DEP_1) | instskip(NEXT) | instid1(VALU_DEP_1)
	v_mul_hi_u32 v2, v0, v2
	v_mul_lo_u32 v3, v2, s10
	s_delay_alu instid0(VALU_DEP_1) | instskip(NEXT) | instid1(VALU_DEP_1)
	v_dual_add_nc_u32 v7, 1, v2 :: v_dual_sub_nc_u32 v3, v0, v3
	v_subrev_nc_u32_e32 v8, s10, v3
	v_cmp_le_u32_e32 vcc_lo, s10, v3
	s_delay_alu instid0(VALU_DEP_2) | instskip(NEXT) | instid1(VALU_DEP_1)
	v_dual_cndmask_b32 v3, v3, v8 :: v_dual_cndmask_b32 v2, v2, v7
	v_cmp_le_u32_e32 vcc_lo, s10, v3
	s_delay_alu instid0(VALU_DEP_2) | instskip(NEXT) | instid1(VALU_DEP_1)
	v_add_nc_u32_e32 v7, 1, v2
	v_cndmask_b32_e32 v8, v2, v7, vcc_lo
.LBB47_13:
	s_or_b32 exec_lo, exec_lo, s2
	v_mul_u64_e32 v[2:3], s[8:9], v[4:5]
	s_clause 0x1
	s_load_b128 s[20:23], s[0:1], 0xb0
	s_load_b512 s[4:19], s[0:1], 0x18
	s_bfe_u32 s2, ttmp6, 0x40014
	s_wait_kmcnt 0x0
	s_bfe_u32 s7, ttmp6, 0x40010
	s_lshr_b32 s24, ttmp7, 16
	s_and_b32 s5, ttmp7, 0xffff
	s_add_co_i32 s2, s2, 1
	s_add_co_i32 s7, s7, 1
	s_bfe_u32 s25, ttmp6, 0x40008
	s_bfe_u32 s9, ttmp6, 0x40004
	s_mul_i32 s2, s24, s2
	s_mul_i32 s7, s5, s7
	s_add_co_i32 s25, s25, s2
	s_add_co_i32 s9, s9, s7
	s_cmp_eq_u32 s3, 0
	s_load_b64 s[2:3], s[0:1], 0xa8
	s_cselect_b32 s7, s5, s9
	s_cselect_b32 s9, s24, s25
	v_ashrrev_i32_e32 v9, 31, v8
	s_sub_co_i32 s25, 0, s20
	s_add_co_i32 s4, s20, s4
	s_sub_co_i32 s24, 0, s21
	s_add_co_i32 s4, s4, -1
	s_max_i32 s28, s20, 0
	v_maxmin_i32 v7, s20, v8, s4
	s_add_co_i32 s6, s21, s6
	s_max_i32 s25, s25, 0
	s_max_i32 s27, s21, 0
	;; [unrolled: 1-line block ×3, first 2 shown]
	s_add_co_i32 s4, s22, s8
	v_sub_nc_u64_e32 v[4:5], v[0:1], v[2:3]
	s_add_co_i32 s6, s6, -1
	s_sub_co_i32 s8, s25, s28
	v_maxmin_i32 v1, s21, v6, s6
	s_sub_co_i32 s6, s24, s27
	v_add_nc_u32_e32 v0, s8, v7
	s_sub_co_i32 s5, 0, s22
	s_max_i32 s26, s22, 0
	s_max_i32 s5, s5, 0
	s_add_co_i32 s4, s4, -1
	v_add_nc_u32_e32 v2, s6, v1
	v_maxmin_i32 v3, s22, v4, s4
	s_sub_co_i32 s4, s5, s26
	v_ashrrev_i32_e32 v1, 31, v0
	s_load_b32 s6, s[0:1], 0xc0
	s_delay_alu instid0(VALU_DEP_2) | instskip(SKIP_1) | instid1(VALU_DEP_3)
	v_dual_ashrrev_i32 v7, 31, v6 :: v_dual_add_nc_u32 v10, s4, v3
	v_ashrrev_i32_e32 v3, 31, v2
	v_mul_u64_e32 v[0:1], s[14:15], v[0:1]
	s_load_b64 s[4:5], s[0:1], 0x0
	s_wait_kmcnt 0x0
	v_mul_u64_e32 v[4:5], s[2:3], v[4:5]
	v_ashrrev_i32_e32 v11, 31, v10
	v_mul_u64_e32 v[2:3], s[16:17], v[2:3]
	s_add_co_i32 s16, s23, s7
	s_delay_alu instid0(SALU_CYCLE_1) | instskip(NEXT) | instid1(VALU_DEP_2)
	s_ashr_i32 s17, s16, 31
	v_mul_u64_e32 v[10:11], s[18:19], v[10:11]
	s_add_co_i32 s14, s6, s9
	s_mul_u64 s[8:9], s[12:13], s[16:17]
	s_ashr_i32 s15, s14, 31
	s_delay_alu instid0(SALU_CYCLE_1) | instskip(NEXT) | instid1(SALU_CYCLE_1)
	s_mul_u64 s[6:7], s[10:11], s[14:15]
	s_lshl_b64 s[6:7], s[6:7], 4
	s_delay_alu instid0(SALU_CYCLE_1) | instskip(SKIP_1) | instid1(SALU_CYCLE_1)
	s_add_nc_u64 s[4:5], s[4:5], s[6:7]
	s_lshl_b64 s[6:7], s[8:9], 4
	s_add_nc_u64 s[4:5], s[4:5], s[6:7]
	s_delay_alu instid0(SALU_CYCLE_1) | instskip(SKIP_1) | instid1(VALU_DEP_1)
	v_lshl_add_u64 v[0:1], v[0:1], 4, s[4:5]
	s_load_b256 s[4:11], s[0:1], 0x88
	v_lshl_add_u64 v[0:1], v[2:3], 4, v[0:1]
	s_wait_xcnt 0x0
	s_load_b64 s[0:1], s[0:1], 0x58
	s_delay_alu instid0(VALU_DEP_1)
	v_lshl_add_u64 v[0:1], v[10:11], 4, v[0:1]
	global_load_b128 v[0:3], v[0:1], off
	s_wait_kmcnt 0x0
	v_mul_u64_e32 v[8:9], s[8:9], v[8:9]
	v_mul_u64_e32 v[6:7], s[10:11], v[6:7]
	s_mul_u64 s[2:3], s[4:5], s[14:15]
	s_mul_u64 s[4:5], s[6:7], s[16:17]
	s_lshl_b64 s[2:3], s[2:3], 4
	s_delay_alu instid0(SALU_CYCLE_1) | instskip(SKIP_1) | instid1(SALU_CYCLE_1)
	s_add_nc_u64 s[0:1], s[0:1], s[2:3]
	s_lshl_b64 s[2:3], s[4:5], 4
	s_add_nc_u64 s[0:1], s[0:1], s[2:3]
	s_delay_alu instid0(VALU_DEP_2) | instid1(SALU_CYCLE_1)
	v_lshl_add_u64 v[8:9], v[8:9], 4, s[0:1]
	s_delay_alu instid0(VALU_DEP_1) | instskip(NEXT) | instid1(VALU_DEP_1)
	v_lshl_add_u64 v[6:7], v[6:7], 4, v[8:9]
	v_lshl_add_u64 v[4:5], v[4:5], 4, v[6:7]
	s_wait_loadcnt 0x0
	global_store_b128 v[4:5], v[0:3], off
.LBB47_14:
	s_endpgm
	.section	.rodata,"a",@progbits
	.p2align	6, 0x0
	.amdhsa_kernel _ZN2at6native12_GLOBAL__N_132replication_pad_forward_kernel3dIN3c107complexIdEEEEvN5torch10headeronly6detail27GenericPackedTensorAccessorINS8_14TensorAccessorINS3_8ArrayRefIlEEKT_Lm4ENS7_16DefaultPtrTraitsElEENS_6detail16IndexBoundsCheckILm5ElEESE_Lm5ESF_lEENS9_INSA_ISC_SD_Lm4ESF_lEESJ_SD_Lm5ESF_lEEiiiii
		.amdhsa_group_segment_fixed_size 0
		.amdhsa_private_segment_fixed_size 0
		.amdhsa_kernarg_size 456
		.amdhsa_user_sgpr_count 2
		.amdhsa_user_sgpr_dispatch_ptr 0
		.amdhsa_user_sgpr_queue_ptr 0
		.amdhsa_user_sgpr_kernarg_segment_ptr 1
		.amdhsa_user_sgpr_dispatch_id 0
		.amdhsa_user_sgpr_kernarg_preload_length 0
		.amdhsa_user_sgpr_kernarg_preload_offset 0
		.amdhsa_user_sgpr_private_segment_size 0
		.amdhsa_wavefront_size32 1
		.amdhsa_uses_dynamic_stack 0
		.amdhsa_enable_private_segment 0
		.amdhsa_system_sgpr_workgroup_id_x 1
		.amdhsa_system_sgpr_workgroup_id_y 1
		.amdhsa_system_sgpr_workgroup_id_z 1
		.amdhsa_system_sgpr_workgroup_info 0
		.amdhsa_system_vgpr_workitem_id 0
		.amdhsa_next_free_vgpr 22
		.amdhsa_next_free_sgpr 29
		.amdhsa_named_barrier_count 0
		.amdhsa_reserve_vcc 1
		.amdhsa_float_round_mode_32 0
		.amdhsa_float_round_mode_16_64 0
		.amdhsa_float_denorm_mode_32 3
		.amdhsa_float_denorm_mode_16_64 3
		.amdhsa_fp16_overflow 0
		.amdhsa_memory_ordered 1
		.amdhsa_forward_progress 1
		.amdhsa_inst_pref_size 23
		.amdhsa_round_robin_scheduling 0
		.amdhsa_exception_fp_ieee_invalid_op 0
		.amdhsa_exception_fp_denorm_src 0
		.amdhsa_exception_fp_ieee_div_zero 0
		.amdhsa_exception_fp_ieee_overflow 0
		.amdhsa_exception_fp_ieee_underflow 0
		.amdhsa_exception_fp_ieee_inexact 0
		.amdhsa_exception_int_div_zero 0
	.end_amdhsa_kernel
	.section	.text._ZN2at6native12_GLOBAL__N_132replication_pad_forward_kernel3dIN3c107complexIdEEEEvN5torch10headeronly6detail27GenericPackedTensorAccessorINS8_14TensorAccessorINS3_8ArrayRefIlEEKT_Lm4ENS7_16DefaultPtrTraitsElEENS_6detail16IndexBoundsCheckILm5ElEESE_Lm5ESF_lEENS9_INSA_ISC_SD_Lm4ESF_lEESJ_SD_Lm5ESF_lEEiiiii,"axG",@progbits,_ZN2at6native12_GLOBAL__N_132replication_pad_forward_kernel3dIN3c107complexIdEEEEvN5torch10headeronly6detail27GenericPackedTensorAccessorINS8_14TensorAccessorINS3_8ArrayRefIlEEKT_Lm4ENS7_16DefaultPtrTraitsElEENS_6detail16IndexBoundsCheckILm5ElEESE_Lm5ESF_lEENS9_INSA_ISC_SD_Lm4ESF_lEESJ_SD_Lm5ESF_lEEiiiii,comdat
.Lfunc_end47:
	.size	_ZN2at6native12_GLOBAL__N_132replication_pad_forward_kernel3dIN3c107complexIdEEEEvN5torch10headeronly6detail27GenericPackedTensorAccessorINS8_14TensorAccessorINS3_8ArrayRefIlEEKT_Lm4ENS7_16DefaultPtrTraitsElEENS_6detail16IndexBoundsCheckILm5ElEESE_Lm5ESF_lEENS9_INSA_ISC_SD_Lm4ESF_lEESJ_SD_Lm5ESF_lEEiiiii, .Lfunc_end47-_ZN2at6native12_GLOBAL__N_132replication_pad_forward_kernel3dIN3c107complexIdEEEEvN5torch10headeronly6detail27GenericPackedTensorAccessorINS8_14TensorAccessorINS3_8ArrayRefIlEEKT_Lm4ENS7_16DefaultPtrTraitsElEENS_6detail16IndexBoundsCheckILm5ElEESE_Lm5ESF_lEENS9_INSA_ISC_SD_Lm4ESF_lEESJ_SD_Lm5ESF_lEEiiiii
                                        ; -- End function
	.set _ZN2at6native12_GLOBAL__N_132replication_pad_forward_kernel3dIN3c107complexIdEEEEvN5torch10headeronly6detail27GenericPackedTensorAccessorINS8_14TensorAccessorINS3_8ArrayRefIlEEKT_Lm4ENS7_16DefaultPtrTraitsElEENS_6detail16IndexBoundsCheckILm5ElEESE_Lm5ESF_lEENS9_INSA_ISC_SD_Lm4ESF_lEESJ_SD_Lm5ESF_lEEiiiii.num_vgpr, 22
	.set _ZN2at6native12_GLOBAL__N_132replication_pad_forward_kernel3dIN3c107complexIdEEEEvN5torch10headeronly6detail27GenericPackedTensorAccessorINS8_14TensorAccessorINS3_8ArrayRefIlEEKT_Lm4ENS7_16DefaultPtrTraitsElEENS_6detail16IndexBoundsCheckILm5ElEESE_Lm5ESF_lEENS9_INSA_ISC_SD_Lm4ESF_lEESJ_SD_Lm5ESF_lEEiiiii.num_agpr, 0
	.set _ZN2at6native12_GLOBAL__N_132replication_pad_forward_kernel3dIN3c107complexIdEEEEvN5torch10headeronly6detail27GenericPackedTensorAccessorINS8_14TensorAccessorINS3_8ArrayRefIlEEKT_Lm4ENS7_16DefaultPtrTraitsElEENS_6detail16IndexBoundsCheckILm5ElEESE_Lm5ESF_lEENS9_INSA_ISC_SD_Lm4ESF_lEESJ_SD_Lm5ESF_lEEiiiii.numbered_sgpr, 29
	.set _ZN2at6native12_GLOBAL__N_132replication_pad_forward_kernel3dIN3c107complexIdEEEEvN5torch10headeronly6detail27GenericPackedTensorAccessorINS8_14TensorAccessorINS3_8ArrayRefIlEEKT_Lm4ENS7_16DefaultPtrTraitsElEENS_6detail16IndexBoundsCheckILm5ElEESE_Lm5ESF_lEENS9_INSA_ISC_SD_Lm4ESF_lEESJ_SD_Lm5ESF_lEEiiiii.num_named_barrier, 0
	.set _ZN2at6native12_GLOBAL__N_132replication_pad_forward_kernel3dIN3c107complexIdEEEEvN5torch10headeronly6detail27GenericPackedTensorAccessorINS8_14TensorAccessorINS3_8ArrayRefIlEEKT_Lm4ENS7_16DefaultPtrTraitsElEENS_6detail16IndexBoundsCheckILm5ElEESE_Lm5ESF_lEENS9_INSA_ISC_SD_Lm4ESF_lEESJ_SD_Lm5ESF_lEEiiiii.private_seg_size, 0
	.set _ZN2at6native12_GLOBAL__N_132replication_pad_forward_kernel3dIN3c107complexIdEEEEvN5torch10headeronly6detail27GenericPackedTensorAccessorINS8_14TensorAccessorINS3_8ArrayRefIlEEKT_Lm4ENS7_16DefaultPtrTraitsElEENS_6detail16IndexBoundsCheckILm5ElEESE_Lm5ESF_lEENS9_INSA_ISC_SD_Lm4ESF_lEESJ_SD_Lm5ESF_lEEiiiii.uses_vcc, 1
	.set _ZN2at6native12_GLOBAL__N_132replication_pad_forward_kernel3dIN3c107complexIdEEEEvN5torch10headeronly6detail27GenericPackedTensorAccessorINS8_14TensorAccessorINS3_8ArrayRefIlEEKT_Lm4ENS7_16DefaultPtrTraitsElEENS_6detail16IndexBoundsCheckILm5ElEESE_Lm5ESF_lEENS9_INSA_ISC_SD_Lm4ESF_lEESJ_SD_Lm5ESF_lEEiiiii.uses_flat_scratch, 0
	.set _ZN2at6native12_GLOBAL__N_132replication_pad_forward_kernel3dIN3c107complexIdEEEEvN5torch10headeronly6detail27GenericPackedTensorAccessorINS8_14TensorAccessorINS3_8ArrayRefIlEEKT_Lm4ENS7_16DefaultPtrTraitsElEENS_6detail16IndexBoundsCheckILm5ElEESE_Lm5ESF_lEENS9_INSA_ISC_SD_Lm4ESF_lEESJ_SD_Lm5ESF_lEEiiiii.has_dyn_sized_stack, 0
	.set _ZN2at6native12_GLOBAL__N_132replication_pad_forward_kernel3dIN3c107complexIdEEEEvN5torch10headeronly6detail27GenericPackedTensorAccessorINS8_14TensorAccessorINS3_8ArrayRefIlEEKT_Lm4ENS7_16DefaultPtrTraitsElEENS_6detail16IndexBoundsCheckILm5ElEESE_Lm5ESF_lEENS9_INSA_ISC_SD_Lm4ESF_lEESJ_SD_Lm5ESF_lEEiiiii.has_recursion, 0
	.set _ZN2at6native12_GLOBAL__N_132replication_pad_forward_kernel3dIN3c107complexIdEEEEvN5torch10headeronly6detail27GenericPackedTensorAccessorINS8_14TensorAccessorINS3_8ArrayRefIlEEKT_Lm4ENS7_16DefaultPtrTraitsElEENS_6detail16IndexBoundsCheckILm5ElEESE_Lm5ESF_lEENS9_INSA_ISC_SD_Lm4ESF_lEESJ_SD_Lm5ESF_lEEiiiii.has_indirect_call, 0
	.section	.AMDGPU.csdata,"",@progbits
; Kernel info:
; codeLenInByte = 2896
; TotalNumSgprs: 31
; NumVgprs: 22
; ScratchSize: 0
; MemoryBound: 0
; FloatMode: 240
; IeeeMode: 1
; LDSByteSize: 0 bytes/workgroup (compile time only)
; SGPRBlocks: 0
; VGPRBlocks: 1
; NumSGPRsForWavesPerEU: 31
; NumVGPRsForWavesPerEU: 22
; NamedBarCnt: 0
; Occupancy: 16
; WaveLimiterHint : 1
; COMPUTE_PGM_RSRC2:SCRATCH_EN: 0
; COMPUTE_PGM_RSRC2:USER_SGPR: 2
; COMPUTE_PGM_RSRC2:TRAP_HANDLER: 0
; COMPUTE_PGM_RSRC2:TGID_X_EN: 1
; COMPUTE_PGM_RSRC2:TGID_Y_EN: 1
; COMPUTE_PGM_RSRC2:TGID_Z_EN: 1
; COMPUTE_PGM_RSRC2:TIDIG_COMP_CNT: 0
	.section	.text._ZN2at6native12_GLOBAL__N_132replication_pad_forward_kernel3dIN3c107complexIfEEEEvN5torch10headeronly6detail27GenericPackedTensorAccessorINS8_14TensorAccessorINS3_8ArrayRefIlEEKT_Lm4ENS7_16DefaultPtrTraitsElEENS_6detail16IndexBoundsCheckILm5ElEESE_Lm5ESF_lEENS9_INSA_ISC_SD_Lm4ESF_lEESJ_SD_Lm5ESF_lEEiiiii,"axG",@progbits,_ZN2at6native12_GLOBAL__N_132replication_pad_forward_kernel3dIN3c107complexIfEEEEvN5torch10headeronly6detail27GenericPackedTensorAccessorINS8_14TensorAccessorINS3_8ArrayRefIlEEKT_Lm4ENS7_16DefaultPtrTraitsElEENS_6detail16IndexBoundsCheckILm5ElEESE_Lm5ESF_lEENS9_INSA_ISC_SD_Lm4ESF_lEESJ_SD_Lm5ESF_lEEiiiii,comdat
	.globl	_ZN2at6native12_GLOBAL__N_132replication_pad_forward_kernel3dIN3c107complexIfEEEEvN5torch10headeronly6detail27GenericPackedTensorAccessorINS8_14TensorAccessorINS3_8ArrayRefIlEEKT_Lm4ENS7_16DefaultPtrTraitsElEENS_6detail16IndexBoundsCheckILm5ElEESE_Lm5ESF_lEENS9_INSA_ISC_SD_Lm4ESF_lEESJ_SD_Lm5ESF_lEEiiiii ; -- Begin function _ZN2at6native12_GLOBAL__N_132replication_pad_forward_kernel3dIN3c107complexIfEEEEvN5torch10headeronly6detail27GenericPackedTensorAccessorINS8_14TensorAccessorINS3_8ArrayRefIlEEKT_Lm4ENS7_16DefaultPtrTraitsElEENS_6detail16IndexBoundsCheckILm5ElEESE_Lm5ESF_lEENS9_INSA_ISC_SD_Lm4ESF_lEESJ_SD_Lm5ESF_lEEiiiii
	.p2align	8
	.type	_ZN2at6native12_GLOBAL__N_132replication_pad_forward_kernel3dIN3c107complexIfEEEEvN5torch10headeronly6detail27GenericPackedTensorAccessorINS8_14TensorAccessorINS3_8ArrayRefIlEEKT_Lm4ENS7_16DefaultPtrTraitsElEENS_6detail16IndexBoundsCheckILm5ElEESE_Lm5ESF_lEENS9_INSA_ISC_SD_Lm4ESF_lEESJ_SD_Lm5ESF_lEEiiiii,@function
_ZN2at6native12_GLOBAL__N_132replication_pad_forward_kernel3dIN3c107complexIfEEEEvN5torch10headeronly6detail27GenericPackedTensorAccessorINS8_14TensorAccessorINS3_8ArrayRefIlEEKT_Lm4ENS7_16DefaultPtrTraitsElEENS_6detail16IndexBoundsCheckILm5ElEESE_Lm5ESF_lEENS9_INSA_ISC_SD_Lm4ESF_lEESJ_SD_Lm5ESF_lEEiiiii: ; @_ZN2at6native12_GLOBAL__N_132replication_pad_forward_kernel3dIN3c107complexIfEEEEvN5torch10headeronly6detail27GenericPackedTensorAccessorINS8_14TensorAccessorINS3_8ArrayRefIlEEKT_Lm4ENS7_16DefaultPtrTraitsElEENS_6detail16IndexBoundsCheckILm5ElEESE_Lm5ESF_lEENS9_INSA_ISC_SD_Lm4ESF_lEESJ_SD_Lm5ESF_lEEiiiii
; %bb.0:
	s_load_b32 s2, s[0:1], 0xd4
	s_bfe_u32 s4, ttmp6, 0x4000c
	s_and_b32 s10, ttmp6, 15
	s_add_co_i32 s11, s4, 1
	s_clause 0x1
	s_load_b128 s[4:7], s[0:1], 0x70
	s_load_b64 s[8:9], s[0:1], 0x80
	s_mul_i32 s11, ttmp9, s11
	s_getreg_b32 s3, hwreg(HW_REG_IB_STS2, 6, 4)
	s_add_co_i32 s10, s10, s11
	s_wait_kmcnt 0x0
	s_and_b32 s2, s2, 0xffff
	s_cmp_eq_u32 s3, 0
	s_cselect_b32 s10, ttmp9, s10
	s_delay_alu instid0(SALU_CYCLE_1) | instskip(SKIP_3) | instid1(VALU_DEP_1)
	v_mad_u32 v0, s10, s2, v0
	s_mul_u64 s[10:11], s[8:9], s[6:7]
	s_mov_b32 s2, exec_lo
	s_mul_u64 s[4:5], s[10:11], s[4:5]
	v_ashrrev_i32_e32 v1, 31, v0
	s_delay_alu instid0(VALU_DEP_1)
	v_cmpx_gt_i64_e64 s[4:5], v[0:1]
	s_cbranch_execz .LBB48_14
; %bb.1:
	v_dual_mov_b32 v6, 0 :: v_dual_bitop2_b32 v7, s9, v1 bitop3:0x54
	v_ashrrev_i32_e32 v2, 31, v1
                                        ; implicit-def: $vgpr4_vgpr5
	s_mov_b32 s2, exec_lo
	s_delay_alu instid0(VALU_DEP_2)
	v_cmpx_ne_u64_e32 0, v[6:7]
	s_xor_b32 s14, exec_lo, s2
	s_cbranch_execz .LBB48_3
; %bb.2:
	s_ashr_i32 s4, s9, 31
	s_mov_b32 s23, 0
	s_mov_b32 s5, s4
	v_dual_mov_b32 v3, v2 :: v_dual_mov_b32 v9, v6
	s_add_nc_u64 s[12:13], s[8:9], s[4:5]
	v_mov_b32_e32 v7, v6
	s_xor_b64 s[12:13], s[12:13], s[4:5]
	s_delay_alu instid0(VALU_DEP_2) | instskip(SKIP_4) | instid1(SALU_CYCLE_1)
	v_add_nc_u64_e32 v[4:5], v[0:1], v[2:3]
	s_cvt_f32_u32 s2, s12
	s_cvt_f32_u32 s5, s13
	s_sub_nc_u64 s[18:19], 0, s[12:13]
	v_dual_mov_b32 v11, v6 :: v_dual_mov_b32 v17, v6
	s_fmamk_f32 s2, s5, 0x4f800000, s2
	s_delay_alu instid0(VALU_DEP_2) | instskip(SKIP_1) | instid1(SALU_CYCLE_1)
	v_xor_b32_e32 v8, v4, v2
	v_xor_b32_e32 v10, v5, v2
	v_s_rcp_f32 s2, s2
	s_delay_alu instid0(TRANS32_DEP_1) | instskip(NEXT) | instid1(SALU_CYCLE_3)
	s_mul_f32 s2, s2, 0x5f7ffffc
	s_mul_f32 s5, s2, 0x2f800000
	s_delay_alu instid0(SALU_CYCLE_3) | instskip(NEXT) | instid1(SALU_CYCLE_3)
	s_trunc_f32 s5, s5
	s_fmamk_f32 s2, s5, 0xcf800000, s2
	s_cvt_u32_f32 s17, s5
	s_delay_alu instid0(SALU_CYCLE_2) | instskip(NEXT) | instid1(SALU_CYCLE_3)
	s_cvt_u32_f32 s16, s2
	s_mul_u64 s[20:21], s[18:19], s[16:17]
	s_delay_alu instid0(SALU_CYCLE_1)
	s_mul_hi_u32 s25, s16, s21
	s_mul_i32 s24, s16, s21
	s_mul_hi_u32 s22, s16, s20
	s_mul_i32 s5, s17, s20
	s_add_nc_u64 s[24:25], s[22:23], s[24:25]
	s_mul_hi_u32 s2, s17, s20
	s_mul_hi_u32 s15, s17, s21
	s_add_co_u32 s5, s24, s5
	s_add_co_ci_u32 s22, s25, s2
	s_mul_i32 s20, s17, s21
	s_add_co_ci_u32 s21, s15, 0
	s_delay_alu instid0(SALU_CYCLE_1) | instskip(NEXT) | instid1(SALU_CYCLE_1)
	s_add_nc_u64 s[20:21], s[22:23], s[20:21]
	s_add_co_u32 s16, s16, s20
	s_cselect_b32 s2, -1, 0
	s_delay_alu instid0(SALU_CYCLE_1) | instskip(SKIP_1) | instid1(SALU_CYCLE_1)
	s_cmp_lg_u32 s2, 0
	s_add_co_ci_u32 s17, s17, s21
	s_mul_u64 s[18:19], s[18:19], s[16:17]
	s_delay_alu instid0(SALU_CYCLE_1)
	s_mul_hi_u32 s21, s16, s19
	s_mul_i32 s20, s16, s19
	s_mul_hi_u32 s22, s16, s18
	s_mul_i32 s5, s17, s18
	s_add_nc_u64 s[20:21], s[22:23], s[20:21]
	s_mul_hi_u32 s2, s17, s18
	s_mul_hi_u32 s15, s17, s19
	s_add_co_u32 s5, s20, s5
	s_add_co_ci_u32 s22, s21, s2
	s_mul_i32 s18, s17, s19
	s_add_co_ci_u32 s19, s15, 0
	s_delay_alu instid0(SALU_CYCLE_1) | instskip(NEXT) | instid1(SALU_CYCLE_1)
	s_add_nc_u64 s[18:19], s[22:23], s[18:19]
	s_add_co_u32 s2, s16, s18
	s_cselect_b32 s5, -1, 0
	v_nop
	v_mul_hi_u32 v16, v8, s2
	s_cmp_lg_u32 s5, 0
	s_add_co_ci_u32 s22, s17, s19
	s_mov_b64 s[16:17], 0xffffffff
	v_mul_u64_e32 v[12:13], s[22:23], v[8:9]
	s_and_b64 s[16:17], s[2:3], s[16:17]
	v_mul_u64_e32 v[14:15], s[22:23], v[10:11]
	v_mul_u64_e32 v[4:5], s[16:17], v[10:11]
	s_delay_alu instid0(VALU_DEP_3) | instskip(NEXT) | instid1(VALU_DEP_1)
	v_add_nc_u64_e32 v[12:13], v[16:17], v[12:13]
	v_add_co_u32 v3, vcc_lo, v12, v4
	s_delay_alu instid0(VALU_DEP_2) | instskip(SKIP_1) | instid1(VALU_DEP_1)
	v_add_co_ci_u32_e32 v6, vcc_lo, v13, v5, vcc_lo
	v_add_co_ci_u32_e32 v15, vcc_lo, 0, v15, vcc_lo
	v_add_nc_u64_e32 v[4:5], v[6:7], v[14:15]
	s_delay_alu instid0(VALU_DEP_1) | instskip(NEXT) | instid1(VALU_DEP_1)
	v_mul_u64_e32 v[6:7], s[12:13], v[4:5]
	v_sub_nc_u32_e32 v3, v10, v7
	s_delay_alu instid0(VALU_DEP_2) | instskip(NEXT) | instid1(VALU_DEP_1)
	v_sub_co_u32 v6, vcc_lo, v8, v6
	v_sub_co_ci_u32_e64 v10, null, v10, v7, vcc_lo
	s_delay_alu instid0(VALU_DEP_3) | instskip(NEXT) | instid1(VALU_DEP_3)
	v_subrev_co_ci_u32_e64 v3, null, s13, v3, vcc_lo
	v_sub_co_u32 v8, s2, v6, s12
	s_delay_alu instid0(VALU_DEP_1) | instskip(NEXT) | instid1(VALU_DEP_2)
	v_subrev_co_ci_u32_e64 v3, null, 0, v3, s2
	v_cmp_le_u32_e32 vcc_lo, s12, v8
	v_cndmask_b32_e64 v7, 0, -1, vcc_lo
	s_delay_alu instid0(VALU_DEP_3)
	v_cmp_le_u32_e32 vcc_lo, s13, v3
	v_cndmask_b32_e64 v8, 0, -1, vcc_lo
	v_cmp_le_u32_e32 vcc_lo, s12, v6
	v_cndmask_b32_e64 v11, 0, -1, vcc_lo
	;; [unrolled: 2-line block ×3, first 2 shown]
	v_cmp_eq_u32_e32 vcc_lo, s13, v3
	v_cndmask_b32_e32 v3, v8, v7, vcc_lo
	v_cmp_eq_u32_e32 vcc_lo, s13, v10
	v_add_nc_u64_e32 v[6:7], 2, v[4:5]
	v_add_nc_u64_e32 v[8:9], 1, v[4:5]
	v_cndmask_b32_e32 v10, v12, v11, vcc_lo
	v_cmp_ne_u32_e32 vcc_lo, 0, v3
	s_delay_alu instid0(VALU_DEP_2) | instskip(NEXT) | instid1(VALU_DEP_4)
	v_cmp_ne_u32_e64 s2, 0, v10
	v_dual_cndmask_b32 v3, v9, v7, vcc_lo :: v_dual_cndmask_b32 v7, v8, v6, vcc_lo
	s_delay_alu instid0(VALU_DEP_1) | instskip(NEXT) | instid1(VALU_DEP_1)
	v_dual_cndmask_b32 v4, v4, v7, s2 :: v_dual_bitop2_b32 v6, s4, v2 bitop3:0x14
	v_dual_cndmask_b32 v3, v5, v3, s2 :: v_dual_mov_b32 v7, v6
	s_delay_alu instid0(VALU_DEP_2) | instskip(NEXT) | instid1(VALU_DEP_2)
	v_xor_b32_e32 v4, v4, v6
	v_xor_b32_e32 v5, v3, v6
	s_delay_alu instid0(VALU_DEP_1)
	v_sub_nc_u64_e32 v[4:5], v[4:5], v[6:7]
.LBB48_3:
	s_and_not1_saveexec_b32 s2, s14
	s_cbranch_execz .LBB48_5
; %bb.4:
	v_cvt_f32_u32_e32 v3, s8
	s_sub_co_i32 s4, 0, s8
	s_delay_alu instid0(VALU_DEP_1) | instskip(SKIP_1) | instid1(TRANS32_DEP_1)
	v_rcp_iflag_f32_e32 v3, v3
	v_nop
	v_mul_f32_e32 v3, 0x4f7ffffe, v3
	s_delay_alu instid0(VALU_DEP_1) | instskip(NEXT) | instid1(VALU_DEP_1)
	v_cvt_u32_f32_e32 v3, v3
	v_mul_lo_u32 v4, s4, v3
	s_delay_alu instid0(VALU_DEP_1) | instskip(NEXT) | instid1(VALU_DEP_1)
	v_mul_hi_u32 v4, v3, v4
	v_add_nc_u32_e32 v3, v3, v4
	s_delay_alu instid0(VALU_DEP_1) | instskip(NEXT) | instid1(VALU_DEP_1)
	v_mul_hi_u32 v3, v0, v3
	v_mul_lo_u32 v4, v3, s8
	s_delay_alu instid0(VALU_DEP_1) | instskip(NEXT) | instid1(VALU_DEP_1)
	v_dual_add_nc_u32 v5, 1, v3 :: v_dual_sub_nc_u32 v4, v0, v4
	v_subrev_nc_u32_e32 v6, s8, v4
	v_cmp_le_u32_e32 vcc_lo, s8, v4
	s_delay_alu instid0(VALU_DEP_2) | instskip(NEXT) | instid1(VALU_DEP_1)
	v_dual_cndmask_b32 v4, v4, v6 :: v_dual_cndmask_b32 v3, v3, v5
	v_cmp_le_u32_e32 vcc_lo, s8, v4
	s_delay_alu instid0(VALU_DEP_2) | instskip(NEXT) | instid1(VALU_DEP_1)
	v_add_nc_u32_e32 v5, 1, v3
	v_dual_cndmask_b32 v4, v3, v5 :: v_dual_mov_b32 v5, 0
.LBB48_5:
	s_or_b32 exec_lo, exec_lo, s2
	s_delay_alu instid0(VALU_DEP_1) | instskip(SKIP_1) | instid1(VALU_DEP_1)
	v_dual_mov_b32 v8, 0 :: v_dual_bitop2_b32 v9, s7, v5 bitop3:0x54
                                        ; implicit-def: $vgpr6_vgpr7
	s_mov_b32 s2, exec_lo
	v_cmpx_ne_u64_e32 0, v[8:9]
	s_xor_b32 s12, exec_lo, s2
	s_cbranch_execz .LBB48_7
; %bb.6:
	s_ashr_i32 s4, s7, 31
	s_mov_b32 s21, 0
	s_mov_b32 s5, s4
	v_dual_mov_b32 v13, v8 :: v_dual_ashrrev_i32 v6, 31, v5
	s_add_nc_u64 s[14:15], s[6:7], s[4:5]
	v_mov_b32_e32 v15, v8
	s_xor_b64 s[4:5], s[14:15], s[4:5]
	s_delay_alu instid0(VALU_DEP_2)
	v_mov_b32_e32 v7, v6
	s_cvt_f32_u32 s2, s4
	s_cvt_f32_u32 s7, s5
	s_sub_nc_u64 s[16:17], 0, s[4:5]
	v_mov_b32_e32 v21, v8
	v_add_nc_u64_e32 v[10:11], v[4:5], v[6:7]
	s_fmamk_f32 s2, s7, 0x4f800000, s2
	v_mov_b32_e32 v9, v8
	s_delay_alu instid0(SALU_CYCLE_2) | instskip(NEXT) | instid1(VALU_DEP_2)
	v_s_rcp_f32 s2, s2
	v_xor_b32_e32 v12, v10, v6
	s_delay_alu instid0(VALU_DEP_3) | instskip(NEXT) | instid1(TRANS32_DEP_1)
	v_xor_b32_e32 v14, v11, v6
	s_mul_f32 s2, s2, 0x5f7ffffc
	s_delay_alu instid0(SALU_CYCLE_3) | instskip(NEXT) | instid1(SALU_CYCLE_3)
	s_mul_f32 s7, s2, 0x2f800000
	s_trunc_f32 s7, s7
	s_delay_alu instid0(SALU_CYCLE_3) | instskip(SKIP_1) | instid1(SALU_CYCLE_2)
	s_fmamk_f32 s2, s7, 0xcf800000, s2
	s_cvt_u32_f32 s15, s7
	s_cvt_u32_f32 s14, s2
	s_delay_alu instid0(SALU_CYCLE_3) | instskip(NEXT) | instid1(SALU_CYCLE_1)
	s_mul_u64 s[18:19], s[16:17], s[14:15]
	s_mul_hi_u32 s23, s14, s19
	s_mul_i32 s22, s14, s19
	s_mul_hi_u32 s20, s14, s18
	s_mul_i32 s7, s15, s18
	s_add_nc_u64 s[22:23], s[20:21], s[22:23]
	s_mul_hi_u32 s2, s15, s18
	s_mul_hi_u32 s13, s15, s19
	s_add_co_u32 s7, s22, s7
	s_add_co_ci_u32 s20, s23, s2
	s_mul_i32 s18, s15, s19
	s_add_co_ci_u32 s19, s13, 0
	s_delay_alu instid0(SALU_CYCLE_1) | instskip(NEXT) | instid1(SALU_CYCLE_1)
	s_add_nc_u64 s[18:19], s[20:21], s[18:19]
	s_add_co_u32 s14, s14, s18
	s_cselect_b32 s2, -1, 0
	s_delay_alu instid0(SALU_CYCLE_1) | instskip(SKIP_1) | instid1(SALU_CYCLE_1)
	s_cmp_lg_u32 s2, 0
	s_add_co_ci_u32 s15, s15, s19
	s_mul_u64 s[16:17], s[16:17], s[14:15]
	s_delay_alu instid0(SALU_CYCLE_1)
	s_mul_hi_u32 s19, s14, s17
	s_mul_i32 s18, s14, s17
	s_mul_hi_u32 s20, s14, s16
	s_mul_i32 s7, s15, s16
	s_add_nc_u64 s[18:19], s[20:21], s[18:19]
	s_mul_hi_u32 s2, s15, s16
	s_mul_hi_u32 s13, s15, s17
	s_add_co_u32 s7, s18, s7
	s_add_co_ci_u32 s20, s19, s2
	s_mul_i32 s16, s15, s17
	s_add_co_ci_u32 s17, s13, 0
	s_delay_alu instid0(SALU_CYCLE_1) | instskip(NEXT) | instid1(SALU_CYCLE_1)
	s_add_nc_u64 s[16:17], s[20:21], s[16:17]
	s_add_co_u32 s2, s14, s16
	s_cselect_b32 s7, -1, 0
	v_mul_hi_u32 v20, v12, s2
	s_cmp_lg_u32 s7, 0
	s_add_co_ci_u32 s20, s15, s17
	s_mov_b64 s[14:15], 0xffffffff
	v_mul_u64_e32 v[16:17], s[20:21], v[12:13]
	s_and_b64 s[14:15], s[2:3], s[14:15]
	v_mul_u64_e32 v[18:19], s[20:21], v[14:15]
	v_mul_u64_e32 v[10:11], s[14:15], v[14:15]
	s_delay_alu instid0(VALU_DEP_3) | instskip(NEXT) | instid1(VALU_DEP_1)
	v_add_nc_u64_e32 v[16:17], v[20:21], v[16:17]
	v_add_co_u32 v3, vcc_lo, v16, v10
	s_delay_alu instid0(VALU_DEP_2) | instskip(SKIP_1) | instid1(VALU_DEP_1)
	v_add_co_ci_u32_e32 v8, vcc_lo, v17, v11, vcc_lo
	v_add_co_ci_u32_e32 v19, vcc_lo, 0, v19, vcc_lo
	v_add_nc_u64_e32 v[8:9], v[8:9], v[18:19]
	s_delay_alu instid0(VALU_DEP_1) | instskip(NEXT) | instid1(VALU_DEP_1)
	v_mul_u64_e32 v[8:9], s[4:5], v[8:9]
	v_sub_co_u32 v8, vcc_lo, v12, v8
	s_delay_alu instid0(VALU_DEP_1) | instskip(NEXT) | instid1(VALU_DEP_1)
	v_cmp_le_u32_e64 s2, s4, v8
	v_cndmask_b32_e64 v12, 0, -1, s2
	s_delay_alu instid0(VALU_DEP_4) | instskip(SKIP_1) | instid1(VALU_DEP_2)
	v_sub_nc_u32_e32 v3, v14, v9
	v_sub_co_ci_u32_e64 v9, null, v14, v9, vcc_lo
	v_subrev_co_ci_u32_e64 v3, null, s5, v3, vcc_lo
	v_sub_co_u32 v10, vcc_lo, v8, s4
	s_delay_alu instid0(VALU_DEP_1) | instskip(NEXT) | instid1(VALU_DEP_2)
	v_subrev_co_ci_u32_e64 v11, null, 0, v3, vcc_lo
	v_cmp_le_u32_e64 s2, s4, v10
	v_subrev_co_ci_u32_e64 v3, null, s5, v3, vcc_lo
	v_cmp_le_u32_e32 vcc_lo, s5, v9
	s_delay_alu instid0(VALU_DEP_3) | instskip(SKIP_3) | instid1(VALU_DEP_3)
	v_cndmask_b32_e64 v13, 0, -1, s2
	v_cmp_le_u32_e64 s2, s5, v11
	v_cndmask_b32_e64 v15, 0, -1, vcc_lo
	v_cmp_eq_u32_e32 vcc_lo, s5, v11
	v_cndmask_b32_e64 v14, 0, -1, s2
	v_cmp_eq_u32_e64 s2, s5, v9
	s_delay_alu instid0(VALU_DEP_2) | instskip(SKIP_1) | instid1(VALU_DEP_1)
	v_cndmask_b32_e32 v13, v14, v13, vcc_lo
	v_sub_co_u32 v14, vcc_lo, v10, s4
	v_subrev_co_ci_u32_e64 v3, null, 0, v3, vcc_lo
	s_delay_alu instid0(VALU_DEP_3) | instskip(SKIP_1) | instid1(VALU_DEP_3)
	v_cmp_ne_u32_e32 vcc_lo, 0, v13
	v_cndmask_b32_e64 v12, v15, v12, s2
	v_dual_cndmask_b32 v3, v11, v3 :: v_dual_cndmask_b32 v10, v10, v14
	s_delay_alu instid0(VALU_DEP_2) | instskip(NEXT) | instid1(VALU_DEP_2)
	v_cmp_ne_u32_e32 vcc_lo, 0, v12
	v_dual_cndmask_b32 v3, v9, v3 :: v_dual_cndmask_b32 v8, v8, v10
	s_delay_alu instid0(VALU_DEP_1) | instskip(NEXT) | instid1(VALU_DEP_2)
	v_xor_b32_e32 v9, v3, v6
	v_xor_b32_e32 v8, v8, v6
	s_delay_alu instid0(VALU_DEP_1)
	v_sub_nc_u64_e32 v[6:7], v[8:9], v[6:7]
.LBB48_7:
	s_and_not1_saveexec_b32 s2, s12
	s_cbranch_execz .LBB48_9
; %bb.8:
	v_cvt_f32_u32_e32 v3, s6
	s_sub_co_i32 s4, 0, s6
	s_delay_alu instid0(VALU_DEP_1) | instskip(SKIP_1) | instid1(TRANS32_DEP_1)
	v_rcp_iflag_f32_e32 v3, v3
	v_nop
	v_mul_f32_e32 v3, 0x4f7ffffe, v3
	s_delay_alu instid0(VALU_DEP_1) | instskip(NEXT) | instid1(VALU_DEP_1)
	v_cvt_u32_f32_e32 v3, v3
	v_mul_lo_u32 v6, s4, v3
	s_delay_alu instid0(VALU_DEP_1) | instskip(NEXT) | instid1(VALU_DEP_1)
	v_mul_hi_u32 v6, v3, v6
	v_add_nc_u32_e32 v3, v3, v6
	s_delay_alu instid0(VALU_DEP_1) | instskip(NEXT) | instid1(VALU_DEP_1)
	v_mul_hi_u32 v3, v4, v3
	v_mul_lo_u32 v3, v3, s6
	s_delay_alu instid0(VALU_DEP_1) | instskip(NEXT) | instid1(VALU_DEP_1)
	v_sub_nc_u32_e32 v3, v4, v3
	v_subrev_nc_u32_e32 v6, s6, v3
	v_cmp_le_u32_e32 vcc_lo, s6, v3
	s_delay_alu instid0(VALU_DEP_2) | instskip(NEXT) | instid1(VALU_DEP_1)
	v_cndmask_b32_e32 v3, v3, v6, vcc_lo
	v_subrev_nc_u32_e32 v6, s6, v3
	v_cmp_le_u32_e32 vcc_lo, s6, v3
	s_delay_alu instid0(VALU_DEP_2)
	v_cndmask_b32_e32 v6, v3, v6, vcc_lo
.LBB48_9:
	s_or_b32 exec_lo, exec_lo, s2
	v_dual_mov_b32 v10, 0 :: v_dual_bitop2_b32 v11, s11, v1 bitop3:0x54
                                        ; implicit-def: $vgpr8_vgpr9
	s_mov_b32 s2, exec_lo
	s_delay_alu instid0(VALU_DEP_1)
	v_cmpx_ne_u64_e32 0, v[10:11]
	s_xor_b32 s12, exec_lo, s2
	s_cbranch_execz .LBB48_11
; %bb.10:
	s_ashr_i32 s4, s11, 31
	s_mov_b32 s21, 0
	s_mov_b32 s5, s4
	v_dual_mov_b32 v3, v2 :: v_dual_mov_b32 v13, v10
	s_add_nc_u64 s[6:7], s[10:11], s[4:5]
	v_mov_b32_e32 v11, v10
	s_xor_b64 s[6:7], s[6:7], s[4:5]
	s_delay_alu instid0(VALU_DEP_2) | instskip(SKIP_4) | instid1(SALU_CYCLE_1)
	v_add_nc_u64_e32 v[8:9], v[0:1], v[2:3]
	s_cvt_f32_u32 s2, s6
	s_cvt_f32_u32 s5, s7
	s_sub_nc_u64 s[16:17], 0, s[6:7]
	v_dual_mov_b32 v15, v10 :: v_dual_mov_b32 v21, v10
	s_fmamk_f32 s2, s5, 0x4f800000, s2
	s_delay_alu instid0(VALU_DEP_2) | instskip(SKIP_3) | instid1(TRANS32_DEP_1)
	v_xor_b32_e32 v12, v8, v2
	v_xor_b32_e32 v14, v9, v2
	;; [unrolled: 1-line block ×3, first 2 shown]
	v_s_rcp_f32 s2, s2
	s_mul_f32 s2, s2, 0x5f7ffffc
	s_delay_alu instid0(SALU_CYCLE_3) | instskip(NEXT) | instid1(SALU_CYCLE_3)
	s_mul_f32 s5, s2, 0x2f800000
	s_trunc_f32 s5, s5
	s_delay_alu instid0(SALU_CYCLE_3) | instskip(SKIP_1) | instid1(SALU_CYCLE_2)
	s_fmamk_f32 s2, s5, 0xcf800000, s2
	s_cvt_u32_f32 s15, s5
	s_cvt_u32_f32 s14, s2
	s_delay_alu instid0(SALU_CYCLE_3) | instskip(NEXT) | instid1(SALU_CYCLE_1)
	s_mul_u64 s[18:19], s[16:17], s[14:15]
	s_mul_hi_u32 s23, s14, s19
	s_mul_i32 s22, s14, s19
	s_mul_hi_u32 s20, s14, s18
	s_mul_i32 s5, s15, s18
	s_add_nc_u64 s[22:23], s[20:21], s[22:23]
	s_mul_hi_u32 s2, s15, s18
	s_mul_hi_u32 s11, s15, s19
	s_add_co_u32 s5, s22, s5
	s_add_co_ci_u32 s20, s23, s2
	s_mul_i32 s18, s15, s19
	s_add_co_ci_u32 s19, s11, 0
	s_delay_alu instid0(SALU_CYCLE_1) | instskip(NEXT) | instid1(SALU_CYCLE_1)
	s_add_nc_u64 s[18:19], s[20:21], s[18:19]
	s_add_co_u32 s14, s14, s18
	s_cselect_b32 s2, -1, 0
	s_delay_alu instid0(SALU_CYCLE_1) | instskip(SKIP_1) | instid1(SALU_CYCLE_1)
	s_cmp_lg_u32 s2, 0
	s_add_co_ci_u32 s15, s15, s19
	s_mul_u64 s[16:17], s[16:17], s[14:15]
	s_delay_alu instid0(SALU_CYCLE_1)
	s_mul_hi_u32 s19, s14, s17
	s_mul_i32 s18, s14, s17
	s_mul_hi_u32 s20, s14, s16
	s_mul_i32 s5, s15, s16
	s_add_nc_u64 s[18:19], s[20:21], s[18:19]
	s_mul_hi_u32 s2, s15, s16
	s_mul_hi_u32 s11, s15, s17
	s_add_co_u32 s5, s18, s5
	s_add_co_ci_u32 s20, s19, s2
	s_mul_i32 s16, s15, s17
	s_add_co_ci_u32 s17, s11, 0
	s_delay_alu instid0(SALU_CYCLE_1) | instskip(NEXT) | instid1(SALU_CYCLE_1)
	s_add_nc_u64 s[16:17], s[20:21], s[16:17]
	s_add_co_u32 s2, s14, s16
	s_cselect_b32 s5, -1, 0
	v_nop
	v_mul_hi_u32 v20, v12, s2
	s_cmp_lg_u32 s5, 0
	s_add_co_ci_u32 s20, s15, s17
	s_mov_b64 s[14:15], 0xffffffff
	v_mul_u64_e32 v[16:17], s[20:21], v[12:13]
	s_and_b64 s[14:15], s[2:3], s[14:15]
	v_mul_u64_e32 v[18:19], s[20:21], v[14:15]
	v_mul_u64_e32 v[8:9], s[14:15], v[14:15]
	s_delay_alu instid0(VALU_DEP_3) | instskip(NEXT) | instid1(VALU_DEP_1)
	v_add_nc_u64_e32 v[16:17], v[20:21], v[16:17]
	v_add_co_u32 v3, vcc_lo, v16, v8
	s_delay_alu instid0(VALU_DEP_2) | instskip(SKIP_1) | instid1(VALU_DEP_1)
	v_add_co_ci_u32_e32 v10, vcc_lo, v17, v9, vcc_lo
	v_add_co_ci_u32_e32 v19, vcc_lo, 0, v19, vcc_lo
	v_add_nc_u64_e32 v[8:9], v[10:11], v[18:19]
	s_delay_alu instid0(VALU_DEP_1) | instskip(NEXT) | instid1(VALU_DEP_1)
	v_mul_u64_e32 v[10:11], s[6:7], v[8:9]
	v_sub_co_u32 v7, vcc_lo, v12, v10
	v_add_nc_u64_e32 v[12:13], 1, v[8:9]
	s_delay_alu instid0(VALU_DEP_3) | instskip(SKIP_1) | instid1(VALU_DEP_4)
	v_sub_nc_u32_e32 v3, v14, v11
	v_sub_co_ci_u32_e64 v14, null, v14, v11, vcc_lo
	v_sub_co_u32 v10, s2, v7, s6
	s_delay_alu instid0(VALU_DEP_3) | instskip(NEXT) | instid1(VALU_DEP_2)
	v_subrev_co_ci_u32_e64 v3, null, s7, v3, vcc_lo
	v_cmp_le_u32_e32 vcc_lo, s6, v10
	s_delay_alu instid0(VALU_DEP_2) | instskip(SKIP_1) | instid1(VALU_DEP_2)
	v_subrev_co_ci_u32_e64 v3, null, 0, v3, s2
	v_cndmask_b32_e64 v10, 0, -1, vcc_lo
	v_cmp_le_u32_e32 vcc_lo, s7, v3
	v_cndmask_b32_e64 v11, 0, -1, vcc_lo
	v_cmp_le_u32_e32 vcc_lo, s6, v7
	;; [unrolled: 2-line block ×3, first 2 shown]
	v_cndmask_b32_e64 v15, 0, -1, vcc_lo
	v_cmp_eq_u32_e32 vcc_lo, s7, v3
	v_cndmask_b32_e32 v3, v11, v10, vcc_lo
	v_cmp_eq_u32_e32 vcc_lo, s7, v14
	v_add_nc_u64_e32 v[10:11], 2, v[8:9]
	v_cndmask_b32_e32 v7, v15, v7, vcc_lo
	s_delay_alu instid0(VALU_DEP_4) | instskip(NEXT) | instid1(VALU_DEP_2)
	v_cmp_ne_u32_e32 vcc_lo, 0, v3
	v_cmp_ne_u32_e64 s2, 0, v7
	s_delay_alu instid0(VALU_DEP_4) | instskip(NEXT) | instid1(VALU_DEP_1)
	v_dual_cndmask_b32 v3, v13, v11, vcc_lo :: v_dual_cndmask_b32 v7, v12, v10, vcc_lo
	v_dual_cndmask_b32 v9, v9, v3, s2 :: v_dual_mov_b32 v3, v2
	s_delay_alu instid0(VALU_DEP_1) | instskip(NEXT) | instid1(VALU_DEP_1)
	v_dual_cndmask_b32 v7, v8, v7, s2 :: v_dual_bitop2_b32 v9, v9, v2 bitop3:0x14
	v_xor_b32_e32 v8, v7, v2
	s_delay_alu instid0(VALU_DEP_1)
	v_sub_nc_u64_e32 v[8:9], v[8:9], v[2:3]
.LBB48_11:
	s_and_not1_saveexec_b32 s2, s12
	s_cbranch_execz .LBB48_13
; %bb.12:
	v_cvt_f32_u32_e32 v2, s10
	s_sub_co_i32 s4, 0, s10
	s_delay_alu instid0(VALU_DEP_1) | instskip(SKIP_1) | instid1(TRANS32_DEP_1)
	v_rcp_iflag_f32_e32 v2, v2
	v_nop
	v_mul_f32_e32 v2, 0x4f7ffffe, v2
	s_delay_alu instid0(VALU_DEP_1) | instskip(NEXT) | instid1(VALU_DEP_1)
	v_cvt_u32_f32_e32 v2, v2
	v_mul_lo_u32 v3, s4, v2
	s_delay_alu instid0(VALU_DEP_1) | instskip(NEXT) | instid1(VALU_DEP_1)
	v_mul_hi_u32 v3, v2, v3
	v_add_nc_u32_e32 v2, v2, v3
	s_delay_alu instid0(VALU_DEP_1) | instskip(NEXT) | instid1(VALU_DEP_1)
	v_mul_hi_u32 v2, v0, v2
	v_mul_lo_u32 v3, v2, s10
	s_delay_alu instid0(VALU_DEP_1) | instskip(NEXT) | instid1(VALU_DEP_1)
	v_dual_add_nc_u32 v7, 1, v2 :: v_dual_sub_nc_u32 v3, v0, v3
	v_subrev_nc_u32_e32 v8, s10, v3
	v_cmp_le_u32_e32 vcc_lo, s10, v3
	s_delay_alu instid0(VALU_DEP_2) | instskip(NEXT) | instid1(VALU_DEP_1)
	v_dual_cndmask_b32 v3, v3, v8 :: v_dual_cndmask_b32 v2, v2, v7
	v_cmp_le_u32_e32 vcc_lo, s10, v3
	s_delay_alu instid0(VALU_DEP_2) | instskip(NEXT) | instid1(VALU_DEP_1)
	v_add_nc_u32_e32 v7, 1, v2
	v_cndmask_b32_e32 v8, v2, v7, vcc_lo
.LBB48_13:
	s_or_b32 exec_lo, exec_lo, s2
	v_mul_u64_e32 v[2:3], s[8:9], v[4:5]
	s_clause 0x1
	s_load_b128 s[20:23], s[0:1], 0xb0
	s_load_b512 s[4:19], s[0:1], 0x18
	s_bfe_u32 s2, ttmp6, 0x40014
	s_wait_kmcnt 0x0
	s_bfe_u32 s7, ttmp6, 0x40010
	s_lshr_b32 s24, ttmp7, 16
	s_and_b32 s5, ttmp7, 0xffff
	s_add_co_i32 s2, s2, 1
	s_add_co_i32 s7, s7, 1
	s_bfe_u32 s25, ttmp6, 0x40008
	s_bfe_u32 s9, ttmp6, 0x40004
	s_mul_i32 s2, s24, s2
	s_mul_i32 s7, s5, s7
	s_add_co_i32 s25, s25, s2
	s_add_co_i32 s9, s9, s7
	s_cmp_eq_u32 s3, 0
	s_load_b64 s[2:3], s[0:1], 0xa8
	s_cselect_b32 s7, s5, s9
	s_cselect_b32 s9, s24, s25
	v_dual_ashrrev_i32 v9, 31, v8 :: v_dual_ashrrev_i32 v7, 31, v6
	s_sub_co_i32 s25, 0, s20
	s_add_co_i32 s4, s20, s4
	s_sub_co_i32 s24, 0, s21
	s_add_co_i32 s4, s4, -1
	s_max_i32 s28, s20, 0
	v_maxmin_i32 v4, s20, v8, s4
	s_add_co_i32 s6, s21, s6
	s_max_i32 s25, s25, 0
	s_max_i32 s27, s21, 0
	;; [unrolled: 1-line block ×3, first 2 shown]
	s_add_co_i32 s4, s22, s8
	v_sub_nc_u64_e32 v[0:1], v[0:1], v[2:3]
	s_add_co_i32 s6, s6, -1
	s_sub_co_i32 s8, s25, s28
	v_maxmin_i32 v3, s21, v6, s6
	s_sub_co_i32 s6, s24, s27
	v_add_nc_u32_e32 v2, s8, v4
	s_sub_co_i32 s5, 0, s22
	s_max_i32 s26, s22, 0
	s_max_i32 s5, s5, 0
	s_add_co_i32 s4, s4, -1
	v_add_nc_u32_e32 v4, s6, v3
	v_maxmin_i32 v5, s22, v0, s4
	s_sub_co_i32 s4, s5, s26
	v_ashrrev_i32_e32 v3, 31, v2
	s_load_b32 s6, s[0:1], 0xc0
	s_delay_alu instid0(VALU_DEP_2) | instskip(NEXT) | instid1(VALU_DEP_2)
	v_dual_add_nc_u32 v10, s4, v5 :: v_dual_ashrrev_i32 v5, 31, v4
	v_mul_u64_e32 v[2:3], s[14:15], v[2:3]
	s_load_b64 s[4:5], s[0:1], 0x0
	s_wait_kmcnt 0x0
	v_mul_u64_e32 v[0:1], s[2:3], v[0:1]
	v_ashrrev_i32_e32 v11, 31, v10
	v_mul_u64_e32 v[4:5], s[16:17], v[4:5]
	s_add_co_i32 s16, s23, s7
	s_delay_alu instid0(SALU_CYCLE_1) | instskip(NEXT) | instid1(VALU_DEP_2)
	s_ashr_i32 s17, s16, 31
	v_mul_u64_e32 v[10:11], s[18:19], v[10:11]
	s_add_co_i32 s14, s6, s9
	s_mul_u64 s[8:9], s[12:13], s[16:17]
	s_ashr_i32 s15, s14, 31
	s_delay_alu instid0(SALU_CYCLE_1) | instskip(NEXT) | instid1(SALU_CYCLE_1)
	s_mul_u64 s[6:7], s[10:11], s[14:15]
	s_lshl_b64 s[6:7], s[6:7], 3
	s_delay_alu instid0(SALU_CYCLE_1) | instskip(SKIP_1) | instid1(SALU_CYCLE_1)
	s_add_nc_u64 s[4:5], s[4:5], s[6:7]
	s_lshl_b64 s[6:7], s[8:9], 3
	s_add_nc_u64 s[4:5], s[4:5], s[6:7]
	s_delay_alu instid0(SALU_CYCLE_1) | instskip(SKIP_1) | instid1(VALU_DEP_1)
	v_lshl_add_u64 v[2:3], v[2:3], 3, s[4:5]
	s_load_b256 s[4:11], s[0:1], 0x88
	v_lshl_add_u64 v[2:3], v[4:5], 3, v[2:3]
	s_wait_xcnt 0x0
	s_load_b64 s[0:1], s[0:1], 0x58
	s_delay_alu instid0(VALU_DEP_1)
	v_lshl_add_u64 v[2:3], v[10:11], 3, v[2:3]
	global_load_b64 v[2:3], v[2:3], off
	s_wait_kmcnt 0x0
	v_mul_u64_e32 v[4:5], s[8:9], v[8:9]
	v_mul_u64_e32 v[6:7], s[10:11], v[6:7]
	s_mul_u64 s[2:3], s[4:5], s[14:15]
	s_mul_u64 s[4:5], s[6:7], s[16:17]
	s_lshl_b64 s[2:3], s[2:3], 3
	s_delay_alu instid0(SALU_CYCLE_1) | instskip(SKIP_1) | instid1(SALU_CYCLE_1)
	s_add_nc_u64 s[0:1], s[0:1], s[2:3]
	s_lshl_b64 s[2:3], s[4:5], 3
	s_add_nc_u64 s[0:1], s[0:1], s[2:3]
	s_delay_alu instid0(VALU_DEP_2) | instid1(SALU_CYCLE_1)
	v_lshl_add_u64 v[4:5], v[4:5], 3, s[0:1]
	s_delay_alu instid0(VALU_DEP_1) | instskip(NEXT) | instid1(VALU_DEP_1)
	v_lshl_add_u64 v[4:5], v[6:7], 3, v[4:5]
	v_lshl_add_u64 v[0:1], v[0:1], 3, v[4:5]
	s_wait_loadcnt 0x0
	global_store_b64 v[0:1], v[2:3], off
.LBB48_14:
	s_endpgm
	.section	.rodata,"a",@progbits
	.p2align	6, 0x0
	.amdhsa_kernel _ZN2at6native12_GLOBAL__N_132replication_pad_forward_kernel3dIN3c107complexIfEEEEvN5torch10headeronly6detail27GenericPackedTensorAccessorINS8_14TensorAccessorINS3_8ArrayRefIlEEKT_Lm4ENS7_16DefaultPtrTraitsElEENS_6detail16IndexBoundsCheckILm5ElEESE_Lm5ESF_lEENS9_INSA_ISC_SD_Lm4ESF_lEESJ_SD_Lm5ESF_lEEiiiii
		.amdhsa_group_segment_fixed_size 0
		.amdhsa_private_segment_fixed_size 0
		.amdhsa_kernarg_size 456
		.amdhsa_user_sgpr_count 2
		.amdhsa_user_sgpr_dispatch_ptr 0
		.amdhsa_user_sgpr_queue_ptr 0
		.amdhsa_user_sgpr_kernarg_segment_ptr 1
		.amdhsa_user_sgpr_dispatch_id 0
		.amdhsa_user_sgpr_kernarg_preload_length 0
		.amdhsa_user_sgpr_kernarg_preload_offset 0
		.amdhsa_user_sgpr_private_segment_size 0
		.amdhsa_wavefront_size32 1
		.amdhsa_uses_dynamic_stack 0
		.amdhsa_enable_private_segment 0
		.amdhsa_system_sgpr_workgroup_id_x 1
		.amdhsa_system_sgpr_workgroup_id_y 1
		.amdhsa_system_sgpr_workgroup_id_z 1
		.amdhsa_system_sgpr_workgroup_info 0
		.amdhsa_system_vgpr_workitem_id 0
		.amdhsa_next_free_vgpr 22
		.amdhsa_next_free_sgpr 29
		.amdhsa_named_barrier_count 0
		.amdhsa_reserve_vcc 1
		.amdhsa_float_round_mode_32 0
		.amdhsa_float_round_mode_16_64 0
		.amdhsa_float_denorm_mode_32 3
		.amdhsa_float_denorm_mode_16_64 3
		.amdhsa_fp16_overflow 0
		.amdhsa_memory_ordered 1
		.amdhsa_forward_progress 1
		.amdhsa_inst_pref_size 23
		.amdhsa_round_robin_scheduling 0
		.amdhsa_exception_fp_ieee_invalid_op 0
		.amdhsa_exception_fp_denorm_src 0
		.amdhsa_exception_fp_ieee_div_zero 0
		.amdhsa_exception_fp_ieee_overflow 0
		.amdhsa_exception_fp_ieee_underflow 0
		.amdhsa_exception_fp_ieee_inexact 0
		.amdhsa_exception_int_div_zero 0
	.end_amdhsa_kernel
	.section	.text._ZN2at6native12_GLOBAL__N_132replication_pad_forward_kernel3dIN3c107complexIfEEEEvN5torch10headeronly6detail27GenericPackedTensorAccessorINS8_14TensorAccessorINS3_8ArrayRefIlEEKT_Lm4ENS7_16DefaultPtrTraitsElEENS_6detail16IndexBoundsCheckILm5ElEESE_Lm5ESF_lEENS9_INSA_ISC_SD_Lm4ESF_lEESJ_SD_Lm5ESF_lEEiiiii,"axG",@progbits,_ZN2at6native12_GLOBAL__N_132replication_pad_forward_kernel3dIN3c107complexIfEEEEvN5torch10headeronly6detail27GenericPackedTensorAccessorINS8_14TensorAccessorINS3_8ArrayRefIlEEKT_Lm4ENS7_16DefaultPtrTraitsElEENS_6detail16IndexBoundsCheckILm5ElEESE_Lm5ESF_lEENS9_INSA_ISC_SD_Lm4ESF_lEESJ_SD_Lm5ESF_lEEiiiii,comdat
.Lfunc_end48:
	.size	_ZN2at6native12_GLOBAL__N_132replication_pad_forward_kernel3dIN3c107complexIfEEEEvN5torch10headeronly6detail27GenericPackedTensorAccessorINS8_14TensorAccessorINS3_8ArrayRefIlEEKT_Lm4ENS7_16DefaultPtrTraitsElEENS_6detail16IndexBoundsCheckILm5ElEESE_Lm5ESF_lEENS9_INSA_ISC_SD_Lm4ESF_lEESJ_SD_Lm5ESF_lEEiiiii, .Lfunc_end48-_ZN2at6native12_GLOBAL__N_132replication_pad_forward_kernel3dIN3c107complexIfEEEEvN5torch10headeronly6detail27GenericPackedTensorAccessorINS8_14TensorAccessorINS3_8ArrayRefIlEEKT_Lm4ENS7_16DefaultPtrTraitsElEENS_6detail16IndexBoundsCheckILm5ElEESE_Lm5ESF_lEENS9_INSA_ISC_SD_Lm4ESF_lEESJ_SD_Lm5ESF_lEEiiiii
                                        ; -- End function
	.set _ZN2at6native12_GLOBAL__N_132replication_pad_forward_kernel3dIN3c107complexIfEEEEvN5torch10headeronly6detail27GenericPackedTensorAccessorINS8_14TensorAccessorINS3_8ArrayRefIlEEKT_Lm4ENS7_16DefaultPtrTraitsElEENS_6detail16IndexBoundsCheckILm5ElEESE_Lm5ESF_lEENS9_INSA_ISC_SD_Lm4ESF_lEESJ_SD_Lm5ESF_lEEiiiii.num_vgpr, 22
	.set _ZN2at6native12_GLOBAL__N_132replication_pad_forward_kernel3dIN3c107complexIfEEEEvN5torch10headeronly6detail27GenericPackedTensorAccessorINS8_14TensorAccessorINS3_8ArrayRefIlEEKT_Lm4ENS7_16DefaultPtrTraitsElEENS_6detail16IndexBoundsCheckILm5ElEESE_Lm5ESF_lEENS9_INSA_ISC_SD_Lm4ESF_lEESJ_SD_Lm5ESF_lEEiiiii.num_agpr, 0
	.set _ZN2at6native12_GLOBAL__N_132replication_pad_forward_kernel3dIN3c107complexIfEEEEvN5torch10headeronly6detail27GenericPackedTensorAccessorINS8_14TensorAccessorINS3_8ArrayRefIlEEKT_Lm4ENS7_16DefaultPtrTraitsElEENS_6detail16IndexBoundsCheckILm5ElEESE_Lm5ESF_lEENS9_INSA_ISC_SD_Lm4ESF_lEESJ_SD_Lm5ESF_lEEiiiii.numbered_sgpr, 29
	.set _ZN2at6native12_GLOBAL__N_132replication_pad_forward_kernel3dIN3c107complexIfEEEEvN5torch10headeronly6detail27GenericPackedTensorAccessorINS8_14TensorAccessorINS3_8ArrayRefIlEEKT_Lm4ENS7_16DefaultPtrTraitsElEENS_6detail16IndexBoundsCheckILm5ElEESE_Lm5ESF_lEENS9_INSA_ISC_SD_Lm4ESF_lEESJ_SD_Lm5ESF_lEEiiiii.num_named_barrier, 0
	.set _ZN2at6native12_GLOBAL__N_132replication_pad_forward_kernel3dIN3c107complexIfEEEEvN5torch10headeronly6detail27GenericPackedTensorAccessorINS8_14TensorAccessorINS3_8ArrayRefIlEEKT_Lm4ENS7_16DefaultPtrTraitsElEENS_6detail16IndexBoundsCheckILm5ElEESE_Lm5ESF_lEENS9_INSA_ISC_SD_Lm4ESF_lEESJ_SD_Lm5ESF_lEEiiiii.private_seg_size, 0
	.set _ZN2at6native12_GLOBAL__N_132replication_pad_forward_kernel3dIN3c107complexIfEEEEvN5torch10headeronly6detail27GenericPackedTensorAccessorINS8_14TensorAccessorINS3_8ArrayRefIlEEKT_Lm4ENS7_16DefaultPtrTraitsElEENS_6detail16IndexBoundsCheckILm5ElEESE_Lm5ESF_lEENS9_INSA_ISC_SD_Lm4ESF_lEESJ_SD_Lm5ESF_lEEiiiii.uses_vcc, 1
	.set _ZN2at6native12_GLOBAL__N_132replication_pad_forward_kernel3dIN3c107complexIfEEEEvN5torch10headeronly6detail27GenericPackedTensorAccessorINS8_14TensorAccessorINS3_8ArrayRefIlEEKT_Lm4ENS7_16DefaultPtrTraitsElEENS_6detail16IndexBoundsCheckILm5ElEESE_Lm5ESF_lEENS9_INSA_ISC_SD_Lm4ESF_lEESJ_SD_Lm5ESF_lEEiiiii.uses_flat_scratch, 0
	.set _ZN2at6native12_GLOBAL__N_132replication_pad_forward_kernel3dIN3c107complexIfEEEEvN5torch10headeronly6detail27GenericPackedTensorAccessorINS8_14TensorAccessorINS3_8ArrayRefIlEEKT_Lm4ENS7_16DefaultPtrTraitsElEENS_6detail16IndexBoundsCheckILm5ElEESE_Lm5ESF_lEENS9_INSA_ISC_SD_Lm4ESF_lEESJ_SD_Lm5ESF_lEEiiiii.has_dyn_sized_stack, 0
	.set _ZN2at6native12_GLOBAL__N_132replication_pad_forward_kernel3dIN3c107complexIfEEEEvN5torch10headeronly6detail27GenericPackedTensorAccessorINS8_14TensorAccessorINS3_8ArrayRefIlEEKT_Lm4ENS7_16DefaultPtrTraitsElEENS_6detail16IndexBoundsCheckILm5ElEESE_Lm5ESF_lEENS9_INSA_ISC_SD_Lm4ESF_lEESJ_SD_Lm5ESF_lEEiiiii.has_recursion, 0
	.set _ZN2at6native12_GLOBAL__N_132replication_pad_forward_kernel3dIN3c107complexIfEEEEvN5torch10headeronly6detail27GenericPackedTensorAccessorINS8_14TensorAccessorINS3_8ArrayRefIlEEKT_Lm4ENS7_16DefaultPtrTraitsElEENS_6detail16IndexBoundsCheckILm5ElEESE_Lm5ESF_lEENS9_INSA_ISC_SD_Lm4ESF_lEESJ_SD_Lm5ESF_lEEiiiii.has_indirect_call, 0
	.section	.AMDGPU.csdata,"",@progbits
; Kernel info:
; codeLenInByte = 2900
; TotalNumSgprs: 31
; NumVgprs: 22
; ScratchSize: 0
; MemoryBound: 0
; FloatMode: 240
; IeeeMode: 1
; LDSByteSize: 0 bytes/workgroup (compile time only)
; SGPRBlocks: 0
; VGPRBlocks: 1
; NumSGPRsForWavesPerEU: 31
; NumVGPRsForWavesPerEU: 22
; NamedBarCnt: 0
; Occupancy: 16
; WaveLimiterHint : 1
; COMPUTE_PGM_RSRC2:SCRATCH_EN: 0
; COMPUTE_PGM_RSRC2:USER_SGPR: 2
; COMPUTE_PGM_RSRC2:TRAP_HANDLER: 0
; COMPUTE_PGM_RSRC2:TGID_X_EN: 1
; COMPUTE_PGM_RSRC2:TGID_Y_EN: 1
; COMPUTE_PGM_RSRC2:TGID_Z_EN: 1
; COMPUTE_PGM_RSRC2:TIDIG_COMP_CNT: 0
	.section	.text._ZN2at6native12_GLOBAL__N_132replication_pad_forward_kernel3dIN3c104HalfEEEvN5torch10headeronly6detail27GenericPackedTensorAccessorINS7_14TensorAccessorINS3_8ArrayRefIlEEKT_Lm4ENS6_16DefaultPtrTraitsElEENS_6detail16IndexBoundsCheckILm5ElEESD_Lm5ESE_lEENS8_INS9_ISB_SC_Lm4ESE_lEESI_SC_Lm5ESE_lEEiiiii,"axG",@progbits,_ZN2at6native12_GLOBAL__N_132replication_pad_forward_kernel3dIN3c104HalfEEEvN5torch10headeronly6detail27GenericPackedTensorAccessorINS7_14TensorAccessorINS3_8ArrayRefIlEEKT_Lm4ENS6_16DefaultPtrTraitsElEENS_6detail16IndexBoundsCheckILm5ElEESD_Lm5ESE_lEENS8_INS9_ISB_SC_Lm4ESE_lEESI_SC_Lm5ESE_lEEiiiii,comdat
	.globl	_ZN2at6native12_GLOBAL__N_132replication_pad_forward_kernel3dIN3c104HalfEEEvN5torch10headeronly6detail27GenericPackedTensorAccessorINS7_14TensorAccessorINS3_8ArrayRefIlEEKT_Lm4ENS6_16DefaultPtrTraitsElEENS_6detail16IndexBoundsCheckILm5ElEESD_Lm5ESE_lEENS8_INS9_ISB_SC_Lm4ESE_lEESI_SC_Lm5ESE_lEEiiiii ; -- Begin function _ZN2at6native12_GLOBAL__N_132replication_pad_forward_kernel3dIN3c104HalfEEEvN5torch10headeronly6detail27GenericPackedTensorAccessorINS7_14TensorAccessorINS3_8ArrayRefIlEEKT_Lm4ENS6_16DefaultPtrTraitsElEENS_6detail16IndexBoundsCheckILm5ElEESD_Lm5ESE_lEENS8_INS9_ISB_SC_Lm4ESE_lEESI_SC_Lm5ESE_lEEiiiii
	.p2align	8
	.type	_ZN2at6native12_GLOBAL__N_132replication_pad_forward_kernel3dIN3c104HalfEEEvN5torch10headeronly6detail27GenericPackedTensorAccessorINS7_14TensorAccessorINS3_8ArrayRefIlEEKT_Lm4ENS6_16DefaultPtrTraitsElEENS_6detail16IndexBoundsCheckILm5ElEESD_Lm5ESE_lEENS8_INS9_ISB_SC_Lm4ESE_lEESI_SC_Lm5ESE_lEEiiiii,@function
_ZN2at6native12_GLOBAL__N_132replication_pad_forward_kernel3dIN3c104HalfEEEvN5torch10headeronly6detail27GenericPackedTensorAccessorINS7_14TensorAccessorINS3_8ArrayRefIlEEKT_Lm4ENS6_16DefaultPtrTraitsElEENS_6detail16IndexBoundsCheckILm5ElEESD_Lm5ESE_lEENS8_INS9_ISB_SC_Lm4ESE_lEESI_SC_Lm5ESE_lEEiiiii: ; @_ZN2at6native12_GLOBAL__N_132replication_pad_forward_kernel3dIN3c104HalfEEEvN5torch10headeronly6detail27GenericPackedTensorAccessorINS7_14TensorAccessorINS3_8ArrayRefIlEEKT_Lm4ENS6_16DefaultPtrTraitsElEENS_6detail16IndexBoundsCheckILm5ElEESD_Lm5ESE_lEENS8_INS9_ISB_SC_Lm4ESE_lEESI_SC_Lm5ESE_lEEiiiii
; %bb.0:
	s_load_b32 s2, s[0:1], 0xd4
	s_bfe_u32 s4, ttmp6, 0x4000c
	s_and_b32 s10, ttmp6, 15
	s_add_co_i32 s11, s4, 1
	s_clause 0x1
	s_load_b128 s[4:7], s[0:1], 0x70
	s_load_b64 s[8:9], s[0:1], 0x80
	s_mul_i32 s11, ttmp9, s11
	s_getreg_b32 s3, hwreg(HW_REG_IB_STS2, 6, 4)
	s_add_co_i32 s10, s10, s11
	s_wait_kmcnt 0x0
	s_and_b32 s2, s2, 0xffff
	s_cmp_eq_u32 s3, 0
	s_cselect_b32 s10, ttmp9, s10
	s_delay_alu instid0(SALU_CYCLE_1) | instskip(SKIP_3) | instid1(VALU_DEP_1)
	v_mad_u32 v0, s10, s2, v0
	s_mul_u64 s[10:11], s[8:9], s[6:7]
	s_mov_b32 s2, exec_lo
	s_mul_u64 s[4:5], s[10:11], s[4:5]
	v_ashrrev_i32_e32 v1, 31, v0
	s_delay_alu instid0(VALU_DEP_1)
	v_cmpx_gt_i64_e64 s[4:5], v[0:1]
	s_cbranch_execz .LBB49_14
; %bb.1:
	v_dual_mov_b32 v6, 0 :: v_dual_bitop2_b32 v7, s9, v1 bitop3:0x54
	v_ashrrev_i32_e32 v2, 31, v1
                                        ; implicit-def: $vgpr4_vgpr5
	s_mov_b32 s2, exec_lo
	s_delay_alu instid0(VALU_DEP_2)
	v_cmpx_ne_u64_e32 0, v[6:7]
	s_xor_b32 s14, exec_lo, s2
	s_cbranch_execz .LBB49_3
; %bb.2:
	s_ashr_i32 s4, s9, 31
	s_mov_b32 s23, 0
	s_mov_b32 s5, s4
	v_dual_mov_b32 v3, v2 :: v_dual_mov_b32 v9, v6
	s_add_nc_u64 s[12:13], s[8:9], s[4:5]
	v_mov_b32_e32 v7, v6
	s_xor_b64 s[12:13], s[12:13], s[4:5]
	s_delay_alu instid0(VALU_DEP_2) | instskip(SKIP_4) | instid1(SALU_CYCLE_1)
	v_add_nc_u64_e32 v[4:5], v[0:1], v[2:3]
	s_cvt_f32_u32 s2, s12
	s_cvt_f32_u32 s5, s13
	s_sub_nc_u64 s[18:19], 0, s[12:13]
	v_dual_mov_b32 v11, v6 :: v_dual_mov_b32 v17, v6
	s_fmamk_f32 s2, s5, 0x4f800000, s2
	s_delay_alu instid0(VALU_DEP_2) | instskip(SKIP_1) | instid1(SALU_CYCLE_1)
	v_xor_b32_e32 v8, v4, v2
	v_xor_b32_e32 v10, v5, v2
	v_s_rcp_f32 s2, s2
	s_delay_alu instid0(TRANS32_DEP_1) | instskip(NEXT) | instid1(SALU_CYCLE_3)
	s_mul_f32 s2, s2, 0x5f7ffffc
	s_mul_f32 s5, s2, 0x2f800000
	s_delay_alu instid0(SALU_CYCLE_3) | instskip(NEXT) | instid1(SALU_CYCLE_3)
	s_trunc_f32 s5, s5
	s_fmamk_f32 s2, s5, 0xcf800000, s2
	s_cvt_u32_f32 s17, s5
	s_delay_alu instid0(SALU_CYCLE_2) | instskip(NEXT) | instid1(SALU_CYCLE_3)
	s_cvt_u32_f32 s16, s2
	s_mul_u64 s[20:21], s[18:19], s[16:17]
	s_delay_alu instid0(SALU_CYCLE_1)
	s_mul_hi_u32 s25, s16, s21
	s_mul_i32 s24, s16, s21
	s_mul_hi_u32 s22, s16, s20
	s_mul_i32 s5, s17, s20
	s_add_nc_u64 s[24:25], s[22:23], s[24:25]
	s_mul_hi_u32 s2, s17, s20
	s_mul_hi_u32 s15, s17, s21
	s_add_co_u32 s5, s24, s5
	s_add_co_ci_u32 s22, s25, s2
	s_mul_i32 s20, s17, s21
	s_add_co_ci_u32 s21, s15, 0
	s_delay_alu instid0(SALU_CYCLE_1) | instskip(NEXT) | instid1(SALU_CYCLE_1)
	s_add_nc_u64 s[20:21], s[22:23], s[20:21]
	s_add_co_u32 s16, s16, s20
	s_cselect_b32 s2, -1, 0
	s_delay_alu instid0(SALU_CYCLE_1) | instskip(SKIP_1) | instid1(SALU_CYCLE_1)
	s_cmp_lg_u32 s2, 0
	s_add_co_ci_u32 s17, s17, s21
	s_mul_u64 s[18:19], s[18:19], s[16:17]
	s_delay_alu instid0(SALU_CYCLE_1)
	s_mul_hi_u32 s21, s16, s19
	s_mul_i32 s20, s16, s19
	s_mul_hi_u32 s22, s16, s18
	s_mul_i32 s5, s17, s18
	s_add_nc_u64 s[20:21], s[22:23], s[20:21]
	s_mul_hi_u32 s2, s17, s18
	s_mul_hi_u32 s15, s17, s19
	s_add_co_u32 s5, s20, s5
	s_add_co_ci_u32 s22, s21, s2
	s_mul_i32 s18, s17, s19
	s_add_co_ci_u32 s19, s15, 0
	s_delay_alu instid0(SALU_CYCLE_1) | instskip(NEXT) | instid1(SALU_CYCLE_1)
	s_add_nc_u64 s[18:19], s[22:23], s[18:19]
	s_add_co_u32 s2, s16, s18
	s_cselect_b32 s5, -1, 0
	v_nop
	v_mul_hi_u32 v16, v8, s2
	s_cmp_lg_u32 s5, 0
	s_add_co_ci_u32 s22, s17, s19
	s_mov_b64 s[16:17], 0xffffffff
	v_mul_u64_e32 v[12:13], s[22:23], v[8:9]
	s_and_b64 s[16:17], s[2:3], s[16:17]
	v_mul_u64_e32 v[14:15], s[22:23], v[10:11]
	v_mul_u64_e32 v[4:5], s[16:17], v[10:11]
	s_delay_alu instid0(VALU_DEP_3) | instskip(NEXT) | instid1(VALU_DEP_1)
	v_add_nc_u64_e32 v[12:13], v[16:17], v[12:13]
	v_add_co_u32 v3, vcc_lo, v12, v4
	s_delay_alu instid0(VALU_DEP_2) | instskip(SKIP_1) | instid1(VALU_DEP_1)
	v_add_co_ci_u32_e32 v6, vcc_lo, v13, v5, vcc_lo
	v_add_co_ci_u32_e32 v15, vcc_lo, 0, v15, vcc_lo
	v_add_nc_u64_e32 v[4:5], v[6:7], v[14:15]
	s_delay_alu instid0(VALU_DEP_1) | instskip(NEXT) | instid1(VALU_DEP_1)
	v_mul_u64_e32 v[6:7], s[12:13], v[4:5]
	v_sub_nc_u32_e32 v3, v10, v7
	s_delay_alu instid0(VALU_DEP_2) | instskip(NEXT) | instid1(VALU_DEP_1)
	v_sub_co_u32 v6, vcc_lo, v8, v6
	v_sub_co_ci_u32_e64 v10, null, v10, v7, vcc_lo
	s_delay_alu instid0(VALU_DEP_3) | instskip(NEXT) | instid1(VALU_DEP_3)
	v_subrev_co_ci_u32_e64 v3, null, s13, v3, vcc_lo
	v_sub_co_u32 v8, s2, v6, s12
	s_delay_alu instid0(VALU_DEP_1) | instskip(NEXT) | instid1(VALU_DEP_2)
	v_subrev_co_ci_u32_e64 v3, null, 0, v3, s2
	v_cmp_le_u32_e32 vcc_lo, s12, v8
	v_cndmask_b32_e64 v7, 0, -1, vcc_lo
	s_delay_alu instid0(VALU_DEP_3)
	v_cmp_le_u32_e32 vcc_lo, s13, v3
	v_cndmask_b32_e64 v8, 0, -1, vcc_lo
	v_cmp_le_u32_e32 vcc_lo, s12, v6
	v_cndmask_b32_e64 v11, 0, -1, vcc_lo
	;; [unrolled: 2-line block ×3, first 2 shown]
	v_cmp_eq_u32_e32 vcc_lo, s13, v3
	v_cndmask_b32_e32 v3, v8, v7, vcc_lo
	v_cmp_eq_u32_e32 vcc_lo, s13, v10
	v_add_nc_u64_e32 v[6:7], 2, v[4:5]
	v_add_nc_u64_e32 v[8:9], 1, v[4:5]
	v_cndmask_b32_e32 v10, v12, v11, vcc_lo
	v_cmp_ne_u32_e32 vcc_lo, 0, v3
	s_delay_alu instid0(VALU_DEP_2) | instskip(NEXT) | instid1(VALU_DEP_4)
	v_cmp_ne_u32_e64 s2, 0, v10
	v_dual_cndmask_b32 v3, v9, v7, vcc_lo :: v_dual_cndmask_b32 v7, v8, v6, vcc_lo
	s_delay_alu instid0(VALU_DEP_1) | instskip(NEXT) | instid1(VALU_DEP_1)
	v_dual_cndmask_b32 v4, v4, v7, s2 :: v_dual_bitop2_b32 v6, s4, v2 bitop3:0x14
	v_dual_cndmask_b32 v3, v5, v3, s2 :: v_dual_mov_b32 v7, v6
	s_delay_alu instid0(VALU_DEP_2) | instskip(NEXT) | instid1(VALU_DEP_2)
	v_xor_b32_e32 v4, v4, v6
	v_xor_b32_e32 v5, v3, v6
	s_delay_alu instid0(VALU_DEP_1)
	v_sub_nc_u64_e32 v[4:5], v[4:5], v[6:7]
.LBB49_3:
	s_and_not1_saveexec_b32 s2, s14
	s_cbranch_execz .LBB49_5
; %bb.4:
	v_cvt_f32_u32_e32 v3, s8
	s_sub_co_i32 s4, 0, s8
	s_delay_alu instid0(VALU_DEP_1) | instskip(SKIP_1) | instid1(TRANS32_DEP_1)
	v_rcp_iflag_f32_e32 v3, v3
	v_nop
	v_mul_f32_e32 v3, 0x4f7ffffe, v3
	s_delay_alu instid0(VALU_DEP_1) | instskip(NEXT) | instid1(VALU_DEP_1)
	v_cvt_u32_f32_e32 v3, v3
	v_mul_lo_u32 v4, s4, v3
	s_delay_alu instid0(VALU_DEP_1) | instskip(NEXT) | instid1(VALU_DEP_1)
	v_mul_hi_u32 v4, v3, v4
	v_add_nc_u32_e32 v3, v3, v4
	s_delay_alu instid0(VALU_DEP_1) | instskip(NEXT) | instid1(VALU_DEP_1)
	v_mul_hi_u32 v3, v0, v3
	v_mul_lo_u32 v4, v3, s8
	s_delay_alu instid0(VALU_DEP_1) | instskip(NEXT) | instid1(VALU_DEP_1)
	v_dual_add_nc_u32 v5, 1, v3 :: v_dual_sub_nc_u32 v4, v0, v4
	v_subrev_nc_u32_e32 v6, s8, v4
	v_cmp_le_u32_e32 vcc_lo, s8, v4
	s_delay_alu instid0(VALU_DEP_2) | instskip(NEXT) | instid1(VALU_DEP_1)
	v_dual_cndmask_b32 v4, v4, v6 :: v_dual_cndmask_b32 v3, v3, v5
	v_cmp_le_u32_e32 vcc_lo, s8, v4
	s_delay_alu instid0(VALU_DEP_2) | instskip(NEXT) | instid1(VALU_DEP_1)
	v_add_nc_u32_e32 v5, 1, v3
	v_dual_cndmask_b32 v4, v3, v5 :: v_dual_mov_b32 v5, 0
.LBB49_5:
	s_or_b32 exec_lo, exec_lo, s2
	s_delay_alu instid0(VALU_DEP_1) | instskip(SKIP_1) | instid1(VALU_DEP_1)
	v_dual_mov_b32 v8, 0 :: v_dual_bitop2_b32 v9, s7, v5 bitop3:0x54
                                        ; implicit-def: $vgpr6_vgpr7
	s_mov_b32 s2, exec_lo
	v_cmpx_ne_u64_e32 0, v[8:9]
	s_xor_b32 s12, exec_lo, s2
	s_cbranch_execz .LBB49_7
; %bb.6:
	s_ashr_i32 s4, s7, 31
	s_mov_b32 s21, 0
	s_mov_b32 s5, s4
	v_dual_mov_b32 v13, v8 :: v_dual_ashrrev_i32 v6, 31, v5
	s_add_nc_u64 s[14:15], s[6:7], s[4:5]
	v_mov_b32_e32 v15, v8
	s_xor_b64 s[4:5], s[14:15], s[4:5]
	s_delay_alu instid0(VALU_DEP_2)
	v_mov_b32_e32 v7, v6
	s_cvt_f32_u32 s2, s4
	s_cvt_f32_u32 s7, s5
	s_sub_nc_u64 s[16:17], 0, s[4:5]
	v_mov_b32_e32 v21, v8
	v_add_nc_u64_e32 v[10:11], v[4:5], v[6:7]
	s_fmamk_f32 s2, s7, 0x4f800000, s2
	v_mov_b32_e32 v9, v8
	s_delay_alu instid0(SALU_CYCLE_2) | instskip(NEXT) | instid1(VALU_DEP_2)
	v_s_rcp_f32 s2, s2
	v_xor_b32_e32 v12, v10, v6
	s_delay_alu instid0(VALU_DEP_3) | instskip(NEXT) | instid1(TRANS32_DEP_1)
	v_xor_b32_e32 v14, v11, v6
	s_mul_f32 s2, s2, 0x5f7ffffc
	s_delay_alu instid0(SALU_CYCLE_3) | instskip(NEXT) | instid1(SALU_CYCLE_3)
	s_mul_f32 s7, s2, 0x2f800000
	s_trunc_f32 s7, s7
	s_delay_alu instid0(SALU_CYCLE_3) | instskip(SKIP_1) | instid1(SALU_CYCLE_2)
	s_fmamk_f32 s2, s7, 0xcf800000, s2
	s_cvt_u32_f32 s15, s7
	s_cvt_u32_f32 s14, s2
	s_delay_alu instid0(SALU_CYCLE_3) | instskip(NEXT) | instid1(SALU_CYCLE_1)
	s_mul_u64 s[18:19], s[16:17], s[14:15]
	s_mul_hi_u32 s23, s14, s19
	s_mul_i32 s22, s14, s19
	s_mul_hi_u32 s20, s14, s18
	s_mul_i32 s7, s15, s18
	s_add_nc_u64 s[22:23], s[20:21], s[22:23]
	s_mul_hi_u32 s2, s15, s18
	s_mul_hi_u32 s13, s15, s19
	s_add_co_u32 s7, s22, s7
	s_add_co_ci_u32 s20, s23, s2
	s_mul_i32 s18, s15, s19
	s_add_co_ci_u32 s19, s13, 0
	s_delay_alu instid0(SALU_CYCLE_1) | instskip(NEXT) | instid1(SALU_CYCLE_1)
	s_add_nc_u64 s[18:19], s[20:21], s[18:19]
	s_add_co_u32 s14, s14, s18
	s_cselect_b32 s2, -1, 0
	s_delay_alu instid0(SALU_CYCLE_1) | instskip(SKIP_1) | instid1(SALU_CYCLE_1)
	s_cmp_lg_u32 s2, 0
	s_add_co_ci_u32 s15, s15, s19
	s_mul_u64 s[16:17], s[16:17], s[14:15]
	s_delay_alu instid0(SALU_CYCLE_1)
	s_mul_hi_u32 s19, s14, s17
	s_mul_i32 s18, s14, s17
	s_mul_hi_u32 s20, s14, s16
	s_mul_i32 s7, s15, s16
	s_add_nc_u64 s[18:19], s[20:21], s[18:19]
	s_mul_hi_u32 s2, s15, s16
	s_mul_hi_u32 s13, s15, s17
	s_add_co_u32 s7, s18, s7
	s_add_co_ci_u32 s20, s19, s2
	s_mul_i32 s16, s15, s17
	s_add_co_ci_u32 s17, s13, 0
	s_delay_alu instid0(SALU_CYCLE_1) | instskip(NEXT) | instid1(SALU_CYCLE_1)
	s_add_nc_u64 s[16:17], s[20:21], s[16:17]
	s_add_co_u32 s2, s14, s16
	s_cselect_b32 s7, -1, 0
	v_mul_hi_u32 v20, v12, s2
	s_cmp_lg_u32 s7, 0
	s_add_co_ci_u32 s20, s15, s17
	s_mov_b64 s[14:15], 0xffffffff
	v_mul_u64_e32 v[16:17], s[20:21], v[12:13]
	s_and_b64 s[14:15], s[2:3], s[14:15]
	v_mul_u64_e32 v[18:19], s[20:21], v[14:15]
	v_mul_u64_e32 v[10:11], s[14:15], v[14:15]
	s_delay_alu instid0(VALU_DEP_3) | instskip(NEXT) | instid1(VALU_DEP_1)
	v_add_nc_u64_e32 v[16:17], v[20:21], v[16:17]
	v_add_co_u32 v3, vcc_lo, v16, v10
	s_delay_alu instid0(VALU_DEP_2) | instskip(SKIP_1) | instid1(VALU_DEP_1)
	v_add_co_ci_u32_e32 v8, vcc_lo, v17, v11, vcc_lo
	v_add_co_ci_u32_e32 v19, vcc_lo, 0, v19, vcc_lo
	v_add_nc_u64_e32 v[8:9], v[8:9], v[18:19]
	s_delay_alu instid0(VALU_DEP_1) | instskip(NEXT) | instid1(VALU_DEP_1)
	v_mul_u64_e32 v[8:9], s[4:5], v[8:9]
	v_sub_co_u32 v8, vcc_lo, v12, v8
	s_delay_alu instid0(VALU_DEP_1) | instskip(NEXT) | instid1(VALU_DEP_1)
	v_cmp_le_u32_e64 s2, s4, v8
	v_cndmask_b32_e64 v12, 0, -1, s2
	s_delay_alu instid0(VALU_DEP_4) | instskip(SKIP_1) | instid1(VALU_DEP_2)
	v_sub_nc_u32_e32 v3, v14, v9
	v_sub_co_ci_u32_e64 v9, null, v14, v9, vcc_lo
	v_subrev_co_ci_u32_e64 v3, null, s5, v3, vcc_lo
	v_sub_co_u32 v10, vcc_lo, v8, s4
	s_delay_alu instid0(VALU_DEP_1) | instskip(NEXT) | instid1(VALU_DEP_2)
	v_subrev_co_ci_u32_e64 v11, null, 0, v3, vcc_lo
	v_cmp_le_u32_e64 s2, s4, v10
	v_subrev_co_ci_u32_e64 v3, null, s5, v3, vcc_lo
	v_cmp_le_u32_e32 vcc_lo, s5, v9
	s_delay_alu instid0(VALU_DEP_3) | instskip(SKIP_3) | instid1(VALU_DEP_3)
	v_cndmask_b32_e64 v13, 0, -1, s2
	v_cmp_le_u32_e64 s2, s5, v11
	v_cndmask_b32_e64 v15, 0, -1, vcc_lo
	v_cmp_eq_u32_e32 vcc_lo, s5, v11
	v_cndmask_b32_e64 v14, 0, -1, s2
	v_cmp_eq_u32_e64 s2, s5, v9
	s_delay_alu instid0(VALU_DEP_2) | instskip(SKIP_1) | instid1(VALU_DEP_1)
	v_cndmask_b32_e32 v13, v14, v13, vcc_lo
	v_sub_co_u32 v14, vcc_lo, v10, s4
	v_subrev_co_ci_u32_e64 v3, null, 0, v3, vcc_lo
	s_delay_alu instid0(VALU_DEP_3) | instskip(SKIP_1) | instid1(VALU_DEP_3)
	v_cmp_ne_u32_e32 vcc_lo, 0, v13
	v_cndmask_b32_e64 v12, v15, v12, s2
	v_dual_cndmask_b32 v3, v11, v3 :: v_dual_cndmask_b32 v10, v10, v14
	s_delay_alu instid0(VALU_DEP_2) | instskip(NEXT) | instid1(VALU_DEP_2)
	v_cmp_ne_u32_e32 vcc_lo, 0, v12
	v_dual_cndmask_b32 v3, v9, v3 :: v_dual_cndmask_b32 v8, v8, v10
	s_delay_alu instid0(VALU_DEP_1) | instskip(NEXT) | instid1(VALU_DEP_2)
	v_xor_b32_e32 v9, v3, v6
	v_xor_b32_e32 v8, v8, v6
	s_delay_alu instid0(VALU_DEP_1)
	v_sub_nc_u64_e32 v[6:7], v[8:9], v[6:7]
.LBB49_7:
	s_and_not1_saveexec_b32 s2, s12
	s_cbranch_execz .LBB49_9
; %bb.8:
	v_cvt_f32_u32_e32 v3, s6
	s_sub_co_i32 s4, 0, s6
	s_delay_alu instid0(VALU_DEP_1) | instskip(SKIP_1) | instid1(TRANS32_DEP_1)
	v_rcp_iflag_f32_e32 v3, v3
	v_nop
	v_mul_f32_e32 v3, 0x4f7ffffe, v3
	s_delay_alu instid0(VALU_DEP_1) | instskip(NEXT) | instid1(VALU_DEP_1)
	v_cvt_u32_f32_e32 v3, v3
	v_mul_lo_u32 v6, s4, v3
	s_delay_alu instid0(VALU_DEP_1) | instskip(NEXT) | instid1(VALU_DEP_1)
	v_mul_hi_u32 v6, v3, v6
	v_add_nc_u32_e32 v3, v3, v6
	s_delay_alu instid0(VALU_DEP_1) | instskip(NEXT) | instid1(VALU_DEP_1)
	v_mul_hi_u32 v3, v4, v3
	v_mul_lo_u32 v3, v3, s6
	s_delay_alu instid0(VALU_DEP_1) | instskip(NEXT) | instid1(VALU_DEP_1)
	v_sub_nc_u32_e32 v3, v4, v3
	v_subrev_nc_u32_e32 v6, s6, v3
	v_cmp_le_u32_e32 vcc_lo, s6, v3
	s_delay_alu instid0(VALU_DEP_2) | instskip(NEXT) | instid1(VALU_DEP_1)
	v_cndmask_b32_e32 v3, v3, v6, vcc_lo
	v_subrev_nc_u32_e32 v6, s6, v3
	v_cmp_le_u32_e32 vcc_lo, s6, v3
	s_delay_alu instid0(VALU_DEP_2)
	v_cndmask_b32_e32 v6, v3, v6, vcc_lo
.LBB49_9:
	s_or_b32 exec_lo, exec_lo, s2
	v_dual_mov_b32 v10, 0 :: v_dual_bitop2_b32 v11, s11, v1 bitop3:0x54
                                        ; implicit-def: $vgpr8_vgpr9
	s_mov_b32 s2, exec_lo
	s_delay_alu instid0(VALU_DEP_1)
	v_cmpx_ne_u64_e32 0, v[10:11]
	s_xor_b32 s12, exec_lo, s2
	s_cbranch_execz .LBB49_11
; %bb.10:
	s_ashr_i32 s4, s11, 31
	s_mov_b32 s21, 0
	s_mov_b32 s5, s4
	v_dual_mov_b32 v3, v2 :: v_dual_mov_b32 v13, v10
	s_add_nc_u64 s[6:7], s[10:11], s[4:5]
	v_mov_b32_e32 v11, v10
	s_xor_b64 s[6:7], s[6:7], s[4:5]
	s_delay_alu instid0(VALU_DEP_2) | instskip(SKIP_4) | instid1(SALU_CYCLE_1)
	v_add_nc_u64_e32 v[8:9], v[0:1], v[2:3]
	s_cvt_f32_u32 s2, s6
	s_cvt_f32_u32 s5, s7
	s_sub_nc_u64 s[16:17], 0, s[6:7]
	v_dual_mov_b32 v15, v10 :: v_dual_mov_b32 v21, v10
	s_fmamk_f32 s2, s5, 0x4f800000, s2
	s_delay_alu instid0(VALU_DEP_2) | instskip(SKIP_3) | instid1(TRANS32_DEP_1)
	v_xor_b32_e32 v12, v8, v2
	v_xor_b32_e32 v14, v9, v2
	v_xor_b32_e32 v2, s4, v2
	v_s_rcp_f32 s2, s2
	s_mul_f32 s2, s2, 0x5f7ffffc
	s_delay_alu instid0(SALU_CYCLE_3) | instskip(NEXT) | instid1(SALU_CYCLE_3)
	s_mul_f32 s5, s2, 0x2f800000
	s_trunc_f32 s5, s5
	s_delay_alu instid0(SALU_CYCLE_3) | instskip(SKIP_1) | instid1(SALU_CYCLE_2)
	s_fmamk_f32 s2, s5, 0xcf800000, s2
	s_cvt_u32_f32 s15, s5
	s_cvt_u32_f32 s14, s2
	s_delay_alu instid0(SALU_CYCLE_3) | instskip(NEXT) | instid1(SALU_CYCLE_1)
	s_mul_u64 s[18:19], s[16:17], s[14:15]
	s_mul_hi_u32 s23, s14, s19
	s_mul_i32 s22, s14, s19
	s_mul_hi_u32 s20, s14, s18
	s_mul_i32 s5, s15, s18
	s_add_nc_u64 s[22:23], s[20:21], s[22:23]
	s_mul_hi_u32 s2, s15, s18
	s_mul_hi_u32 s11, s15, s19
	s_add_co_u32 s5, s22, s5
	s_add_co_ci_u32 s20, s23, s2
	s_mul_i32 s18, s15, s19
	s_add_co_ci_u32 s19, s11, 0
	s_delay_alu instid0(SALU_CYCLE_1) | instskip(NEXT) | instid1(SALU_CYCLE_1)
	s_add_nc_u64 s[18:19], s[20:21], s[18:19]
	s_add_co_u32 s14, s14, s18
	s_cselect_b32 s2, -1, 0
	s_delay_alu instid0(SALU_CYCLE_1) | instskip(SKIP_1) | instid1(SALU_CYCLE_1)
	s_cmp_lg_u32 s2, 0
	s_add_co_ci_u32 s15, s15, s19
	s_mul_u64 s[16:17], s[16:17], s[14:15]
	s_delay_alu instid0(SALU_CYCLE_1)
	s_mul_hi_u32 s19, s14, s17
	s_mul_i32 s18, s14, s17
	s_mul_hi_u32 s20, s14, s16
	s_mul_i32 s5, s15, s16
	s_add_nc_u64 s[18:19], s[20:21], s[18:19]
	s_mul_hi_u32 s2, s15, s16
	s_mul_hi_u32 s11, s15, s17
	s_add_co_u32 s5, s18, s5
	s_add_co_ci_u32 s20, s19, s2
	s_mul_i32 s16, s15, s17
	s_add_co_ci_u32 s17, s11, 0
	s_delay_alu instid0(SALU_CYCLE_1) | instskip(NEXT) | instid1(SALU_CYCLE_1)
	s_add_nc_u64 s[16:17], s[20:21], s[16:17]
	s_add_co_u32 s2, s14, s16
	s_cselect_b32 s5, -1, 0
	v_nop
	v_mul_hi_u32 v20, v12, s2
	s_cmp_lg_u32 s5, 0
	s_add_co_ci_u32 s20, s15, s17
	s_mov_b64 s[14:15], 0xffffffff
	v_mul_u64_e32 v[16:17], s[20:21], v[12:13]
	s_and_b64 s[14:15], s[2:3], s[14:15]
	v_mul_u64_e32 v[18:19], s[20:21], v[14:15]
	v_mul_u64_e32 v[8:9], s[14:15], v[14:15]
	s_delay_alu instid0(VALU_DEP_3) | instskip(NEXT) | instid1(VALU_DEP_1)
	v_add_nc_u64_e32 v[16:17], v[20:21], v[16:17]
	v_add_co_u32 v3, vcc_lo, v16, v8
	s_delay_alu instid0(VALU_DEP_2) | instskip(SKIP_1) | instid1(VALU_DEP_1)
	v_add_co_ci_u32_e32 v10, vcc_lo, v17, v9, vcc_lo
	v_add_co_ci_u32_e32 v19, vcc_lo, 0, v19, vcc_lo
	v_add_nc_u64_e32 v[8:9], v[10:11], v[18:19]
	s_delay_alu instid0(VALU_DEP_1) | instskip(NEXT) | instid1(VALU_DEP_1)
	v_mul_u64_e32 v[10:11], s[6:7], v[8:9]
	v_sub_co_u32 v7, vcc_lo, v12, v10
	v_add_nc_u64_e32 v[12:13], 1, v[8:9]
	s_delay_alu instid0(VALU_DEP_3) | instskip(SKIP_1) | instid1(VALU_DEP_4)
	v_sub_nc_u32_e32 v3, v14, v11
	v_sub_co_ci_u32_e64 v14, null, v14, v11, vcc_lo
	v_sub_co_u32 v10, s2, v7, s6
	s_delay_alu instid0(VALU_DEP_3) | instskip(NEXT) | instid1(VALU_DEP_2)
	v_subrev_co_ci_u32_e64 v3, null, s7, v3, vcc_lo
	v_cmp_le_u32_e32 vcc_lo, s6, v10
	s_delay_alu instid0(VALU_DEP_2) | instskip(SKIP_1) | instid1(VALU_DEP_2)
	v_subrev_co_ci_u32_e64 v3, null, 0, v3, s2
	v_cndmask_b32_e64 v10, 0, -1, vcc_lo
	v_cmp_le_u32_e32 vcc_lo, s7, v3
	v_cndmask_b32_e64 v11, 0, -1, vcc_lo
	v_cmp_le_u32_e32 vcc_lo, s6, v7
	;; [unrolled: 2-line block ×3, first 2 shown]
	v_cndmask_b32_e64 v15, 0, -1, vcc_lo
	v_cmp_eq_u32_e32 vcc_lo, s7, v3
	v_cndmask_b32_e32 v3, v11, v10, vcc_lo
	v_cmp_eq_u32_e32 vcc_lo, s7, v14
	v_add_nc_u64_e32 v[10:11], 2, v[8:9]
	v_cndmask_b32_e32 v7, v15, v7, vcc_lo
	s_delay_alu instid0(VALU_DEP_4) | instskip(NEXT) | instid1(VALU_DEP_2)
	v_cmp_ne_u32_e32 vcc_lo, 0, v3
	v_cmp_ne_u32_e64 s2, 0, v7
	s_delay_alu instid0(VALU_DEP_4) | instskip(NEXT) | instid1(VALU_DEP_1)
	v_dual_cndmask_b32 v3, v13, v11, vcc_lo :: v_dual_cndmask_b32 v7, v12, v10, vcc_lo
	v_dual_cndmask_b32 v9, v9, v3, s2 :: v_dual_mov_b32 v3, v2
	s_delay_alu instid0(VALU_DEP_1) | instskip(NEXT) | instid1(VALU_DEP_1)
	v_dual_cndmask_b32 v7, v8, v7, s2 :: v_dual_bitop2_b32 v9, v9, v2 bitop3:0x14
	v_xor_b32_e32 v8, v7, v2
	s_delay_alu instid0(VALU_DEP_1)
	v_sub_nc_u64_e32 v[8:9], v[8:9], v[2:3]
.LBB49_11:
	s_and_not1_saveexec_b32 s2, s12
	s_cbranch_execz .LBB49_13
; %bb.12:
	v_cvt_f32_u32_e32 v2, s10
	s_sub_co_i32 s4, 0, s10
	s_delay_alu instid0(VALU_DEP_1) | instskip(SKIP_1) | instid1(TRANS32_DEP_1)
	v_rcp_iflag_f32_e32 v2, v2
	v_nop
	v_mul_f32_e32 v2, 0x4f7ffffe, v2
	s_delay_alu instid0(VALU_DEP_1) | instskip(NEXT) | instid1(VALU_DEP_1)
	v_cvt_u32_f32_e32 v2, v2
	v_mul_lo_u32 v3, s4, v2
	s_delay_alu instid0(VALU_DEP_1) | instskip(NEXT) | instid1(VALU_DEP_1)
	v_mul_hi_u32 v3, v2, v3
	v_add_nc_u32_e32 v2, v2, v3
	s_delay_alu instid0(VALU_DEP_1) | instskip(NEXT) | instid1(VALU_DEP_1)
	v_mul_hi_u32 v2, v0, v2
	v_mul_lo_u32 v3, v2, s10
	s_delay_alu instid0(VALU_DEP_1) | instskip(NEXT) | instid1(VALU_DEP_1)
	v_dual_add_nc_u32 v7, 1, v2 :: v_dual_sub_nc_u32 v3, v0, v3
	v_subrev_nc_u32_e32 v8, s10, v3
	v_cmp_le_u32_e32 vcc_lo, s10, v3
	s_delay_alu instid0(VALU_DEP_2) | instskip(NEXT) | instid1(VALU_DEP_1)
	v_dual_cndmask_b32 v3, v3, v8 :: v_dual_cndmask_b32 v2, v2, v7
	v_cmp_le_u32_e32 vcc_lo, s10, v3
	s_delay_alu instid0(VALU_DEP_2) | instskip(NEXT) | instid1(VALU_DEP_1)
	v_add_nc_u32_e32 v7, 1, v2
	v_cndmask_b32_e32 v8, v2, v7, vcc_lo
.LBB49_13:
	s_or_b32 exec_lo, exec_lo, s2
	v_mul_u64_e32 v[2:3], s[8:9], v[4:5]
	s_clause 0x1
	s_load_b128 s[20:23], s[0:1], 0xb0
	s_load_b512 s[4:19], s[0:1], 0x18
	s_bfe_u32 s2, ttmp6, 0x40014
	s_wait_kmcnt 0x0
	s_bfe_u32 s7, ttmp6, 0x40010
	s_lshr_b32 s24, ttmp7, 16
	s_and_b32 s5, ttmp7, 0xffff
	s_add_co_i32 s2, s2, 1
	s_add_co_i32 s7, s7, 1
	s_bfe_u32 s25, ttmp6, 0x40008
	s_bfe_u32 s9, ttmp6, 0x40004
	s_mul_i32 s2, s24, s2
	s_mul_i32 s7, s5, s7
	s_add_co_i32 s25, s25, s2
	s_add_co_i32 s9, s9, s7
	s_cmp_eq_u32 s3, 0
	s_load_b64 s[2:3], s[0:1], 0xa8
	s_cselect_b32 s7, s5, s9
	s_cselect_b32 s9, s24, s25
	v_dual_ashrrev_i32 v9, 31, v8 :: v_dual_ashrrev_i32 v7, 31, v6
	s_sub_co_i32 s25, 0, s20
	s_add_co_i32 s4, s20, s4
	s_sub_co_i32 s24, 0, s21
	s_add_co_i32 s4, s4, -1
	s_max_i32 s28, s20, 0
	v_maxmin_i32 v4, s20, v8, s4
	s_add_co_i32 s6, s21, s6
	s_max_i32 s25, s25, 0
	s_max_i32 s27, s21, 0
	;; [unrolled: 1-line block ×3, first 2 shown]
	s_add_co_i32 s4, s22, s8
	v_sub_nc_u64_e32 v[0:1], v[0:1], v[2:3]
	s_add_co_i32 s6, s6, -1
	s_sub_co_i32 s8, s25, s28
	v_maxmin_i32 v3, s21, v6, s6
	s_sub_co_i32 s6, s24, s27
	v_add_nc_u32_e32 v2, s8, v4
	s_sub_co_i32 s5, 0, s22
	s_max_i32 s26, s22, 0
	s_max_i32 s5, s5, 0
	s_add_co_i32 s4, s4, -1
	v_add_nc_u32_e32 v4, s6, v3
	v_maxmin_i32 v5, s22, v0, s4
	s_sub_co_i32 s4, s5, s26
	v_ashrrev_i32_e32 v3, 31, v2
	s_load_b32 s6, s[0:1], 0xc0
	s_delay_alu instid0(VALU_DEP_2) | instskip(NEXT) | instid1(VALU_DEP_2)
	v_dual_add_nc_u32 v10, s4, v5 :: v_dual_ashrrev_i32 v5, 31, v4
	v_mul_u64_e32 v[2:3], s[14:15], v[2:3]
	s_load_b64 s[4:5], s[0:1], 0x0
	s_wait_kmcnt 0x0
	v_mul_u64_e32 v[0:1], s[2:3], v[0:1]
	v_ashrrev_i32_e32 v11, 31, v10
	v_mul_u64_e32 v[4:5], s[16:17], v[4:5]
	s_add_co_i32 s16, s23, s7
	s_delay_alu instid0(SALU_CYCLE_1) | instskip(NEXT) | instid1(VALU_DEP_2)
	s_ashr_i32 s17, s16, 31
	v_mul_u64_e32 v[10:11], s[18:19], v[10:11]
	s_add_co_i32 s14, s6, s9
	s_mul_u64 s[8:9], s[12:13], s[16:17]
	s_ashr_i32 s15, s14, 31
	s_delay_alu instid0(SALU_CYCLE_1) | instskip(NEXT) | instid1(SALU_CYCLE_1)
	s_mul_u64 s[6:7], s[10:11], s[14:15]
	s_lshl_b64 s[6:7], s[6:7], 1
	s_delay_alu instid0(SALU_CYCLE_1) | instskip(SKIP_1) | instid1(SALU_CYCLE_1)
	s_add_nc_u64 s[4:5], s[4:5], s[6:7]
	s_lshl_b64 s[6:7], s[8:9], 1
	s_add_nc_u64 s[4:5], s[4:5], s[6:7]
	s_delay_alu instid0(SALU_CYCLE_1) | instskip(SKIP_1) | instid1(VALU_DEP_1)
	v_lshl_add_u64 v[2:3], v[2:3], 1, s[4:5]
	s_load_b256 s[4:11], s[0:1], 0x88
	v_lshl_add_u64 v[2:3], v[4:5], 1, v[2:3]
	s_wait_xcnt 0x0
	s_load_b64 s[0:1], s[0:1], 0x58
	s_delay_alu instid0(VALU_DEP_1)
	v_lshl_add_u64 v[2:3], v[10:11], 1, v[2:3]
	global_load_u16 v10, v[2:3], off
	s_wait_kmcnt 0x0
	v_mul_u64_e32 v[2:3], s[8:9], v[8:9]
	v_mul_u64_e32 v[4:5], s[10:11], v[6:7]
	s_mul_u64 s[2:3], s[4:5], s[14:15]
	s_mul_u64 s[4:5], s[6:7], s[16:17]
	s_lshl_b64 s[2:3], s[2:3], 1
	s_delay_alu instid0(SALU_CYCLE_1) | instskip(SKIP_1) | instid1(SALU_CYCLE_1)
	s_add_nc_u64 s[0:1], s[0:1], s[2:3]
	s_lshl_b64 s[2:3], s[4:5], 1
	s_add_nc_u64 s[0:1], s[0:1], s[2:3]
	s_delay_alu instid0(VALU_DEP_2) | instid1(SALU_CYCLE_1)
	v_lshl_add_u64 v[2:3], v[2:3], 1, s[0:1]
	s_delay_alu instid0(VALU_DEP_1) | instskip(NEXT) | instid1(VALU_DEP_1)
	v_lshl_add_u64 v[2:3], v[4:5], 1, v[2:3]
	v_lshl_add_u64 v[0:1], v[0:1], 1, v[2:3]
	s_wait_loadcnt 0x0
	global_store_b16 v[0:1], v10, off
.LBB49_14:
	s_endpgm
	.section	.rodata,"a",@progbits
	.p2align	6, 0x0
	.amdhsa_kernel _ZN2at6native12_GLOBAL__N_132replication_pad_forward_kernel3dIN3c104HalfEEEvN5torch10headeronly6detail27GenericPackedTensorAccessorINS7_14TensorAccessorINS3_8ArrayRefIlEEKT_Lm4ENS6_16DefaultPtrTraitsElEENS_6detail16IndexBoundsCheckILm5ElEESD_Lm5ESE_lEENS8_INS9_ISB_SC_Lm4ESE_lEESI_SC_Lm5ESE_lEEiiiii
		.amdhsa_group_segment_fixed_size 0
		.amdhsa_private_segment_fixed_size 0
		.amdhsa_kernarg_size 456
		.amdhsa_user_sgpr_count 2
		.amdhsa_user_sgpr_dispatch_ptr 0
		.amdhsa_user_sgpr_queue_ptr 0
		.amdhsa_user_sgpr_kernarg_segment_ptr 1
		.amdhsa_user_sgpr_dispatch_id 0
		.amdhsa_user_sgpr_kernarg_preload_length 0
		.amdhsa_user_sgpr_kernarg_preload_offset 0
		.amdhsa_user_sgpr_private_segment_size 0
		.amdhsa_wavefront_size32 1
		.amdhsa_uses_dynamic_stack 0
		.amdhsa_enable_private_segment 0
		.amdhsa_system_sgpr_workgroup_id_x 1
		.amdhsa_system_sgpr_workgroup_id_y 1
		.amdhsa_system_sgpr_workgroup_id_z 1
		.amdhsa_system_sgpr_workgroup_info 0
		.amdhsa_system_vgpr_workitem_id 0
		.amdhsa_next_free_vgpr 22
		.amdhsa_next_free_sgpr 29
		.amdhsa_named_barrier_count 0
		.amdhsa_reserve_vcc 1
		.amdhsa_float_round_mode_32 0
		.amdhsa_float_round_mode_16_64 0
		.amdhsa_float_denorm_mode_32 3
		.amdhsa_float_denorm_mode_16_64 3
		.amdhsa_fp16_overflow 0
		.amdhsa_memory_ordered 1
		.amdhsa_forward_progress 1
		.amdhsa_inst_pref_size 23
		.amdhsa_round_robin_scheduling 0
		.amdhsa_exception_fp_ieee_invalid_op 0
		.amdhsa_exception_fp_denorm_src 0
		.amdhsa_exception_fp_ieee_div_zero 0
		.amdhsa_exception_fp_ieee_overflow 0
		.amdhsa_exception_fp_ieee_underflow 0
		.amdhsa_exception_fp_ieee_inexact 0
		.amdhsa_exception_int_div_zero 0
	.end_amdhsa_kernel
	.section	.text._ZN2at6native12_GLOBAL__N_132replication_pad_forward_kernel3dIN3c104HalfEEEvN5torch10headeronly6detail27GenericPackedTensorAccessorINS7_14TensorAccessorINS3_8ArrayRefIlEEKT_Lm4ENS6_16DefaultPtrTraitsElEENS_6detail16IndexBoundsCheckILm5ElEESD_Lm5ESE_lEENS8_INS9_ISB_SC_Lm4ESE_lEESI_SC_Lm5ESE_lEEiiiii,"axG",@progbits,_ZN2at6native12_GLOBAL__N_132replication_pad_forward_kernel3dIN3c104HalfEEEvN5torch10headeronly6detail27GenericPackedTensorAccessorINS7_14TensorAccessorINS3_8ArrayRefIlEEKT_Lm4ENS6_16DefaultPtrTraitsElEENS_6detail16IndexBoundsCheckILm5ElEESD_Lm5ESE_lEENS8_INS9_ISB_SC_Lm4ESE_lEESI_SC_Lm5ESE_lEEiiiii,comdat
.Lfunc_end49:
	.size	_ZN2at6native12_GLOBAL__N_132replication_pad_forward_kernel3dIN3c104HalfEEEvN5torch10headeronly6detail27GenericPackedTensorAccessorINS7_14TensorAccessorINS3_8ArrayRefIlEEKT_Lm4ENS6_16DefaultPtrTraitsElEENS_6detail16IndexBoundsCheckILm5ElEESD_Lm5ESE_lEENS8_INS9_ISB_SC_Lm4ESE_lEESI_SC_Lm5ESE_lEEiiiii, .Lfunc_end49-_ZN2at6native12_GLOBAL__N_132replication_pad_forward_kernel3dIN3c104HalfEEEvN5torch10headeronly6detail27GenericPackedTensorAccessorINS7_14TensorAccessorINS3_8ArrayRefIlEEKT_Lm4ENS6_16DefaultPtrTraitsElEENS_6detail16IndexBoundsCheckILm5ElEESD_Lm5ESE_lEENS8_INS9_ISB_SC_Lm4ESE_lEESI_SC_Lm5ESE_lEEiiiii
                                        ; -- End function
	.set _ZN2at6native12_GLOBAL__N_132replication_pad_forward_kernel3dIN3c104HalfEEEvN5torch10headeronly6detail27GenericPackedTensorAccessorINS7_14TensorAccessorINS3_8ArrayRefIlEEKT_Lm4ENS6_16DefaultPtrTraitsElEENS_6detail16IndexBoundsCheckILm5ElEESD_Lm5ESE_lEENS8_INS9_ISB_SC_Lm4ESE_lEESI_SC_Lm5ESE_lEEiiiii.num_vgpr, 22
	.set _ZN2at6native12_GLOBAL__N_132replication_pad_forward_kernel3dIN3c104HalfEEEvN5torch10headeronly6detail27GenericPackedTensorAccessorINS7_14TensorAccessorINS3_8ArrayRefIlEEKT_Lm4ENS6_16DefaultPtrTraitsElEENS_6detail16IndexBoundsCheckILm5ElEESD_Lm5ESE_lEENS8_INS9_ISB_SC_Lm4ESE_lEESI_SC_Lm5ESE_lEEiiiii.num_agpr, 0
	.set _ZN2at6native12_GLOBAL__N_132replication_pad_forward_kernel3dIN3c104HalfEEEvN5torch10headeronly6detail27GenericPackedTensorAccessorINS7_14TensorAccessorINS3_8ArrayRefIlEEKT_Lm4ENS6_16DefaultPtrTraitsElEENS_6detail16IndexBoundsCheckILm5ElEESD_Lm5ESE_lEENS8_INS9_ISB_SC_Lm4ESE_lEESI_SC_Lm5ESE_lEEiiiii.numbered_sgpr, 29
	.set _ZN2at6native12_GLOBAL__N_132replication_pad_forward_kernel3dIN3c104HalfEEEvN5torch10headeronly6detail27GenericPackedTensorAccessorINS7_14TensorAccessorINS3_8ArrayRefIlEEKT_Lm4ENS6_16DefaultPtrTraitsElEENS_6detail16IndexBoundsCheckILm5ElEESD_Lm5ESE_lEENS8_INS9_ISB_SC_Lm4ESE_lEESI_SC_Lm5ESE_lEEiiiii.num_named_barrier, 0
	.set _ZN2at6native12_GLOBAL__N_132replication_pad_forward_kernel3dIN3c104HalfEEEvN5torch10headeronly6detail27GenericPackedTensorAccessorINS7_14TensorAccessorINS3_8ArrayRefIlEEKT_Lm4ENS6_16DefaultPtrTraitsElEENS_6detail16IndexBoundsCheckILm5ElEESD_Lm5ESE_lEENS8_INS9_ISB_SC_Lm4ESE_lEESI_SC_Lm5ESE_lEEiiiii.private_seg_size, 0
	.set _ZN2at6native12_GLOBAL__N_132replication_pad_forward_kernel3dIN3c104HalfEEEvN5torch10headeronly6detail27GenericPackedTensorAccessorINS7_14TensorAccessorINS3_8ArrayRefIlEEKT_Lm4ENS6_16DefaultPtrTraitsElEENS_6detail16IndexBoundsCheckILm5ElEESD_Lm5ESE_lEENS8_INS9_ISB_SC_Lm4ESE_lEESI_SC_Lm5ESE_lEEiiiii.uses_vcc, 1
	.set _ZN2at6native12_GLOBAL__N_132replication_pad_forward_kernel3dIN3c104HalfEEEvN5torch10headeronly6detail27GenericPackedTensorAccessorINS7_14TensorAccessorINS3_8ArrayRefIlEEKT_Lm4ENS6_16DefaultPtrTraitsElEENS_6detail16IndexBoundsCheckILm5ElEESD_Lm5ESE_lEENS8_INS9_ISB_SC_Lm4ESE_lEESI_SC_Lm5ESE_lEEiiiii.uses_flat_scratch, 0
	.set _ZN2at6native12_GLOBAL__N_132replication_pad_forward_kernel3dIN3c104HalfEEEvN5torch10headeronly6detail27GenericPackedTensorAccessorINS7_14TensorAccessorINS3_8ArrayRefIlEEKT_Lm4ENS6_16DefaultPtrTraitsElEENS_6detail16IndexBoundsCheckILm5ElEESD_Lm5ESE_lEENS8_INS9_ISB_SC_Lm4ESE_lEESI_SC_Lm5ESE_lEEiiiii.has_dyn_sized_stack, 0
	.set _ZN2at6native12_GLOBAL__N_132replication_pad_forward_kernel3dIN3c104HalfEEEvN5torch10headeronly6detail27GenericPackedTensorAccessorINS7_14TensorAccessorINS3_8ArrayRefIlEEKT_Lm4ENS6_16DefaultPtrTraitsElEENS_6detail16IndexBoundsCheckILm5ElEESD_Lm5ESE_lEENS8_INS9_ISB_SC_Lm4ESE_lEESI_SC_Lm5ESE_lEEiiiii.has_recursion, 0
	.set _ZN2at6native12_GLOBAL__N_132replication_pad_forward_kernel3dIN3c104HalfEEEvN5torch10headeronly6detail27GenericPackedTensorAccessorINS7_14TensorAccessorINS3_8ArrayRefIlEEKT_Lm4ENS6_16DefaultPtrTraitsElEENS_6detail16IndexBoundsCheckILm5ElEESD_Lm5ESE_lEENS8_INS9_ISB_SC_Lm4ESE_lEESI_SC_Lm5ESE_lEEiiiii.has_indirect_call, 0
	.section	.AMDGPU.csdata,"",@progbits
; Kernel info:
; codeLenInByte = 2900
; TotalNumSgprs: 31
; NumVgprs: 22
; ScratchSize: 0
; MemoryBound: 0
; FloatMode: 240
; IeeeMode: 1
; LDSByteSize: 0 bytes/workgroup (compile time only)
; SGPRBlocks: 0
; VGPRBlocks: 1
; NumSGPRsForWavesPerEU: 31
; NumVGPRsForWavesPerEU: 22
; NamedBarCnt: 0
; Occupancy: 16
; WaveLimiterHint : 1
; COMPUTE_PGM_RSRC2:SCRATCH_EN: 0
; COMPUTE_PGM_RSRC2:USER_SGPR: 2
; COMPUTE_PGM_RSRC2:TRAP_HANDLER: 0
; COMPUTE_PGM_RSRC2:TGID_X_EN: 1
; COMPUTE_PGM_RSRC2:TGID_Y_EN: 1
; COMPUTE_PGM_RSRC2:TGID_Z_EN: 1
; COMPUTE_PGM_RSRC2:TIDIG_COMP_CNT: 0
	.section	.text._ZN2at6native12_GLOBAL__N_132replication_pad_forward_kernel3dIN3c108BFloat16EEEvN5torch10headeronly6detail27GenericPackedTensorAccessorINS7_14TensorAccessorINS3_8ArrayRefIlEEKT_Lm4ENS6_16DefaultPtrTraitsElEENS_6detail16IndexBoundsCheckILm5ElEESD_Lm5ESE_lEENS8_INS9_ISB_SC_Lm4ESE_lEESI_SC_Lm5ESE_lEEiiiii,"axG",@progbits,_ZN2at6native12_GLOBAL__N_132replication_pad_forward_kernel3dIN3c108BFloat16EEEvN5torch10headeronly6detail27GenericPackedTensorAccessorINS7_14TensorAccessorINS3_8ArrayRefIlEEKT_Lm4ENS6_16DefaultPtrTraitsElEENS_6detail16IndexBoundsCheckILm5ElEESD_Lm5ESE_lEENS8_INS9_ISB_SC_Lm4ESE_lEESI_SC_Lm5ESE_lEEiiiii,comdat
	.globl	_ZN2at6native12_GLOBAL__N_132replication_pad_forward_kernel3dIN3c108BFloat16EEEvN5torch10headeronly6detail27GenericPackedTensorAccessorINS7_14TensorAccessorINS3_8ArrayRefIlEEKT_Lm4ENS6_16DefaultPtrTraitsElEENS_6detail16IndexBoundsCheckILm5ElEESD_Lm5ESE_lEENS8_INS9_ISB_SC_Lm4ESE_lEESI_SC_Lm5ESE_lEEiiiii ; -- Begin function _ZN2at6native12_GLOBAL__N_132replication_pad_forward_kernel3dIN3c108BFloat16EEEvN5torch10headeronly6detail27GenericPackedTensorAccessorINS7_14TensorAccessorINS3_8ArrayRefIlEEKT_Lm4ENS6_16DefaultPtrTraitsElEENS_6detail16IndexBoundsCheckILm5ElEESD_Lm5ESE_lEENS8_INS9_ISB_SC_Lm4ESE_lEESI_SC_Lm5ESE_lEEiiiii
	.p2align	8
	.type	_ZN2at6native12_GLOBAL__N_132replication_pad_forward_kernel3dIN3c108BFloat16EEEvN5torch10headeronly6detail27GenericPackedTensorAccessorINS7_14TensorAccessorINS3_8ArrayRefIlEEKT_Lm4ENS6_16DefaultPtrTraitsElEENS_6detail16IndexBoundsCheckILm5ElEESD_Lm5ESE_lEENS8_INS9_ISB_SC_Lm4ESE_lEESI_SC_Lm5ESE_lEEiiiii,@function
_ZN2at6native12_GLOBAL__N_132replication_pad_forward_kernel3dIN3c108BFloat16EEEvN5torch10headeronly6detail27GenericPackedTensorAccessorINS7_14TensorAccessorINS3_8ArrayRefIlEEKT_Lm4ENS6_16DefaultPtrTraitsElEENS_6detail16IndexBoundsCheckILm5ElEESD_Lm5ESE_lEENS8_INS9_ISB_SC_Lm4ESE_lEESI_SC_Lm5ESE_lEEiiiii: ; @_ZN2at6native12_GLOBAL__N_132replication_pad_forward_kernel3dIN3c108BFloat16EEEvN5torch10headeronly6detail27GenericPackedTensorAccessorINS7_14TensorAccessorINS3_8ArrayRefIlEEKT_Lm4ENS6_16DefaultPtrTraitsElEENS_6detail16IndexBoundsCheckILm5ElEESD_Lm5ESE_lEENS8_INS9_ISB_SC_Lm4ESE_lEESI_SC_Lm5ESE_lEEiiiii
; %bb.0:
	s_load_b32 s2, s[0:1], 0xd4
	s_bfe_u32 s4, ttmp6, 0x4000c
	s_and_b32 s10, ttmp6, 15
	s_add_co_i32 s11, s4, 1
	s_clause 0x1
	s_load_b128 s[4:7], s[0:1], 0x70
	s_load_b64 s[8:9], s[0:1], 0x80
	s_mul_i32 s11, ttmp9, s11
	s_getreg_b32 s3, hwreg(HW_REG_IB_STS2, 6, 4)
	s_add_co_i32 s10, s10, s11
	s_wait_kmcnt 0x0
	s_and_b32 s2, s2, 0xffff
	s_cmp_eq_u32 s3, 0
	s_cselect_b32 s10, ttmp9, s10
	s_delay_alu instid0(SALU_CYCLE_1) | instskip(SKIP_3) | instid1(VALU_DEP_1)
	v_mad_u32 v0, s10, s2, v0
	s_mul_u64 s[10:11], s[8:9], s[6:7]
	s_mov_b32 s2, exec_lo
	s_mul_u64 s[4:5], s[10:11], s[4:5]
	v_ashrrev_i32_e32 v1, 31, v0
	s_delay_alu instid0(VALU_DEP_1)
	v_cmpx_gt_i64_e64 s[4:5], v[0:1]
	s_cbranch_execz .LBB50_14
; %bb.1:
	v_dual_mov_b32 v6, 0 :: v_dual_bitop2_b32 v7, s9, v1 bitop3:0x54
	v_ashrrev_i32_e32 v2, 31, v1
                                        ; implicit-def: $vgpr4_vgpr5
	s_mov_b32 s2, exec_lo
	s_delay_alu instid0(VALU_DEP_2)
	v_cmpx_ne_u64_e32 0, v[6:7]
	s_xor_b32 s14, exec_lo, s2
	s_cbranch_execz .LBB50_3
; %bb.2:
	s_ashr_i32 s4, s9, 31
	s_mov_b32 s23, 0
	s_mov_b32 s5, s4
	v_dual_mov_b32 v3, v2 :: v_dual_mov_b32 v9, v6
	s_add_nc_u64 s[12:13], s[8:9], s[4:5]
	v_mov_b32_e32 v7, v6
	s_xor_b64 s[12:13], s[12:13], s[4:5]
	s_delay_alu instid0(VALU_DEP_2) | instskip(SKIP_4) | instid1(SALU_CYCLE_1)
	v_add_nc_u64_e32 v[4:5], v[0:1], v[2:3]
	s_cvt_f32_u32 s2, s12
	s_cvt_f32_u32 s5, s13
	s_sub_nc_u64 s[18:19], 0, s[12:13]
	v_dual_mov_b32 v11, v6 :: v_dual_mov_b32 v17, v6
	s_fmamk_f32 s2, s5, 0x4f800000, s2
	s_delay_alu instid0(VALU_DEP_2) | instskip(SKIP_1) | instid1(SALU_CYCLE_1)
	v_xor_b32_e32 v8, v4, v2
	v_xor_b32_e32 v10, v5, v2
	v_s_rcp_f32 s2, s2
	s_delay_alu instid0(TRANS32_DEP_1) | instskip(NEXT) | instid1(SALU_CYCLE_3)
	s_mul_f32 s2, s2, 0x5f7ffffc
	s_mul_f32 s5, s2, 0x2f800000
	s_delay_alu instid0(SALU_CYCLE_3) | instskip(NEXT) | instid1(SALU_CYCLE_3)
	s_trunc_f32 s5, s5
	s_fmamk_f32 s2, s5, 0xcf800000, s2
	s_cvt_u32_f32 s17, s5
	s_delay_alu instid0(SALU_CYCLE_2) | instskip(NEXT) | instid1(SALU_CYCLE_3)
	s_cvt_u32_f32 s16, s2
	s_mul_u64 s[20:21], s[18:19], s[16:17]
	s_delay_alu instid0(SALU_CYCLE_1)
	s_mul_hi_u32 s25, s16, s21
	s_mul_i32 s24, s16, s21
	s_mul_hi_u32 s22, s16, s20
	s_mul_i32 s5, s17, s20
	s_add_nc_u64 s[24:25], s[22:23], s[24:25]
	s_mul_hi_u32 s2, s17, s20
	s_mul_hi_u32 s15, s17, s21
	s_add_co_u32 s5, s24, s5
	s_add_co_ci_u32 s22, s25, s2
	s_mul_i32 s20, s17, s21
	s_add_co_ci_u32 s21, s15, 0
	s_delay_alu instid0(SALU_CYCLE_1) | instskip(NEXT) | instid1(SALU_CYCLE_1)
	s_add_nc_u64 s[20:21], s[22:23], s[20:21]
	s_add_co_u32 s16, s16, s20
	s_cselect_b32 s2, -1, 0
	s_delay_alu instid0(SALU_CYCLE_1) | instskip(SKIP_1) | instid1(SALU_CYCLE_1)
	s_cmp_lg_u32 s2, 0
	s_add_co_ci_u32 s17, s17, s21
	s_mul_u64 s[18:19], s[18:19], s[16:17]
	s_delay_alu instid0(SALU_CYCLE_1)
	s_mul_hi_u32 s21, s16, s19
	s_mul_i32 s20, s16, s19
	s_mul_hi_u32 s22, s16, s18
	s_mul_i32 s5, s17, s18
	s_add_nc_u64 s[20:21], s[22:23], s[20:21]
	s_mul_hi_u32 s2, s17, s18
	s_mul_hi_u32 s15, s17, s19
	s_add_co_u32 s5, s20, s5
	s_add_co_ci_u32 s22, s21, s2
	s_mul_i32 s18, s17, s19
	s_add_co_ci_u32 s19, s15, 0
	s_delay_alu instid0(SALU_CYCLE_1) | instskip(NEXT) | instid1(SALU_CYCLE_1)
	s_add_nc_u64 s[18:19], s[22:23], s[18:19]
	s_add_co_u32 s2, s16, s18
	s_cselect_b32 s5, -1, 0
	v_nop
	v_mul_hi_u32 v16, v8, s2
	s_cmp_lg_u32 s5, 0
	s_add_co_ci_u32 s22, s17, s19
	s_mov_b64 s[16:17], 0xffffffff
	v_mul_u64_e32 v[12:13], s[22:23], v[8:9]
	s_and_b64 s[16:17], s[2:3], s[16:17]
	v_mul_u64_e32 v[14:15], s[22:23], v[10:11]
	v_mul_u64_e32 v[4:5], s[16:17], v[10:11]
	s_delay_alu instid0(VALU_DEP_3) | instskip(NEXT) | instid1(VALU_DEP_1)
	v_add_nc_u64_e32 v[12:13], v[16:17], v[12:13]
	v_add_co_u32 v3, vcc_lo, v12, v4
	s_delay_alu instid0(VALU_DEP_2) | instskip(SKIP_1) | instid1(VALU_DEP_1)
	v_add_co_ci_u32_e32 v6, vcc_lo, v13, v5, vcc_lo
	v_add_co_ci_u32_e32 v15, vcc_lo, 0, v15, vcc_lo
	v_add_nc_u64_e32 v[4:5], v[6:7], v[14:15]
	s_delay_alu instid0(VALU_DEP_1) | instskip(NEXT) | instid1(VALU_DEP_1)
	v_mul_u64_e32 v[6:7], s[12:13], v[4:5]
	v_sub_nc_u32_e32 v3, v10, v7
	s_delay_alu instid0(VALU_DEP_2) | instskip(NEXT) | instid1(VALU_DEP_1)
	v_sub_co_u32 v6, vcc_lo, v8, v6
	v_sub_co_ci_u32_e64 v10, null, v10, v7, vcc_lo
	s_delay_alu instid0(VALU_DEP_3) | instskip(NEXT) | instid1(VALU_DEP_3)
	v_subrev_co_ci_u32_e64 v3, null, s13, v3, vcc_lo
	v_sub_co_u32 v8, s2, v6, s12
	s_delay_alu instid0(VALU_DEP_1) | instskip(NEXT) | instid1(VALU_DEP_2)
	v_subrev_co_ci_u32_e64 v3, null, 0, v3, s2
	v_cmp_le_u32_e32 vcc_lo, s12, v8
	v_cndmask_b32_e64 v7, 0, -1, vcc_lo
	s_delay_alu instid0(VALU_DEP_3)
	v_cmp_le_u32_e32 vcc_lo, s13, v3
	v_cndmask_b32_e64 v8, 0, -1, vcc_lo
	v_cmp_le_u32_e32 vcc_lo, s12, v6
	v_cndmask_b32_e64 v11, 0, -1, vcc_lo
	;; [unrolled: 2-line block ×3, first 2 shown]
	v_cmp_eq_u32_e32 vcc_lo, s13, v3
	v_cndmask_b32_e32 v3, v8, v7, vcc_lo
	v_cmp_eq_u32_e32 vcc_lo, s13, v10
	v_add_nc_u64_e32 v[6:7], 2, v[4:5]
	v_add_nc_u64_e32 v[8:9], 1, v[4:5]
	v_cndmask_b32_e32 v10, v12, v11, vcc_lo
	v_cmp_ne_u32_e32 vcc_lo, 0, v3
	s_delay_alu instid0(VALU_DEP_2) | instskip(NEXT) | instid1(VALU_DEP_4)
	v_cmp_ne_u32_e64 s2, 0, v10
	v_dual_cndmask_b32 v3, v9, v7, vcc_lo :: v_dual_cndmask_b32 v7, v8, v6, vcc_lo
	s_delay_alu instid0(VALU_DEP_1) | instskip(NEXT) | instid1(VALU_DEP_1)
	v_dual_cndmask_b32 v4, v4, v7, s2 :: v_dual_bitop2_b32 v6, s4, v2 bitop3:0x14
	v_dual_cndmask_b32 v3, v5, v3, s2 :: v_dual_mov_b32 v7, v6
	s_delay_alu instid0(VALU_DEP_2) | instskip(NEXT) | instid1(VALU_DEP_2)
	v_xor_b32_e32 v4, v4, v6
	v_xor_b32_e32 v5, v3, v6
	s_delay_alu instid0(VALU_DEP_1)
	v_sub_nc_u64_e32 v[4:5], v[4:5], v[6:7]
.LBB50_3:
	s_and_not1_saveexec_b32 s2, s14
	s_cbranch_execz .LBB50_5
; %bb.4:
	v_cvt_f32_u32_e32 v3, s8
	s_sub_co_i32 s4, 0, s8
	s_delay_alu instid0(VALU_DEP_1) | instskip(SKIP_1) | instid1(TRANS32_DEP_1)
	v_rcp_iflag_f32_e32 v3, v3
	v_nop
	v_mul_f32_e32 v3, 0x4f7ffffe, v3
	s_delay_alu instid0(VALU_DEP_1) | instskip(NEXT) | instid1(VALU_DEP_1)
	v_cvt_u32_f32_e32 v3, v3
	v_mul_lo_u32 v4, s4, v3
	s_delay_alu instid0(VALU_DEP_1) | instskip(NEXT) | instid1(VALU_DEP_1)
	v_mul_hi_u32 v4, v3, v4
	v_add_nc_u32_e32 v3, v3, v4
	s_delay_alu instid0(VALU_DEP_1) | instskip(NEXT) | instid1(VALU_DEP_1)
	v_mul_hi_u32 v3, v0, v3
	v_mul_lo_u32 v4, v3, s8
	s_delay_alu instid0(VALU_DEP_1) | instskip(NEXT) | instid1(VALU_DEP_1)
	v_dual_add_nc_u32 v5, 1, v3 :: v_dual_sub_nc_u32 v4, v0, v4
	v_subrev_nc_u32_e32 v6, s8, v4
	v_cmp_le_u32_e32 vcc_lo, s8, v4
	s_delay_alu instid0(VALU_DEP_2) | instskip(NEXT) | instid1(VALU_DEP_1)
	v_dual_cndmask_b32 v4, v4, v6 :: v_dual_cndmask_b32 v3, v3, v5
	v_cmp_le_u32_e32 vcc_lo, s8, v4
	s_delay_alu instid0(VALU_DEP_2) | instskip(NEXT) | instid1(VALU_DEP_1)
	v_add_nc_u32_e32 v5, 1, v3
	v_dual_cndmask_b32 v4, v3, v5 :: v_dual_mov_b32 v5, 0
.LBB50_5:
	s_or_b32 exec_lo, exec_lo, s2
	s_delay_alu instid0(VALU_DEP_1) | instskip(SKIP_1) | instid1(VALU_DEP_1)
	v_dual_mov_b32 v8, 0 :: v_dual_bitop2_b32 v9, s7, v5 bitop3:0x54
                                        ; implicit-def: $vgpr6_vgpr7
	s_mov_b32 s2, exec_lo
	v_cmpx_ne_u64_e32 0, v[8:9]
	s_xor_b32 s12, exec_lo, s2
	s_cbranch_execz .LBB50_7
; %bb.6:
	s_ashr_i32 s4, s7, 31
	s_mov_b32 s21, 0
	s_mov_b32 s5, s4
	v_dual_mov_b32 v13, v8 :: v_dual_ashrrev_i32 v6, 31, v5
	s_add_nc_u64 s[14:15], s[6:7], s[4:5]
	v_mov_b32_e32 v15, v8
	s_xor_b64 s[4:5], s[14:15], s[4:5]
	s_delay_alu instid0(VALU_DEP_2)
	v_mov_b32_e32 v7, v6
	s_cvt_f32_u32 s2, s4
	s_cvt_f32_u32 s7, s5
	s_sub_nc_u64 s[16:17], 0, s[4:5]
	v_mov_b32_e32 v21, v8
	v_add_nc_u64_e32 v[10:11], v[4:5], v[6:7]
	s_fmamk_f32 s2, s7, 0x4f800000, s2
	v_mov_b32_e32 v9, v8
	s_delay_alu instid0(SALU_CYCLE_2) | instskip(NEXT) | instid1(VALU_DEP_2)
	v_s_rcp_f32 s2, s2
	v_xor_b32_e32 v12, v10, v6
	s_delay_alu instid0(VALU_DEP_3) | instskip(NEXT) | instid1(TRANS32_DEP_1)
	v_xor_b32_e32 v14, v11, v6
	s_mul_f32 s2, s2, 0x5f7ffffc
	s_delay_alu instid0(SALU_CYCLE_3) | instskip(NEXT) | instid1(SALU_CYCLE_3)
	s_mul_f32 s7, s2, 0x2f800000
	s_trunc_f32 s7, s7
	s_delay_alu instid0(SALU_CYCLE_3) | instskip(SKIP_1) | instid1(SALU_CYCLE_2)
	s_fmamk_f32 s2, s7, 0xcf800000, s2
	s_cvt_u32_f32 s15, s7
	s_cvt_u32_f32 s14, s2
	s_delay_alu instid0(SALU_CYCLE_3) | instskip(NEXT) | instid1(SALU_CYCLE_1)
	s_mul_u64 s[18:19], s[16:17], s[14:15]
	s_mul_hi_u32 s23, s14, s19
	s_mul_i32 s22, s14, s19
	s_mul_hi_u32 s20, s14, s18
	s_mul_i32 s7, s15, s18
	s_add_nc_u64 s[22:23], s[20:21], s[22:23]
	s_mul_hi_u32 s2, s15, s18
	s_mul_hi_u32 s13, s15, s19
	s_add_co_u32 s7, s22, s7
	s_add_co_ci_u32 s20, s23, s2
	s_mul_i32 s18, s15, s19
	s_add_co_ci_u32 s19, s13, 0
	s_delay_alu instid0(SALU_CYCLE_1) | instskip(NEXT) | instid1(SALU_CYCLE_1)
	s_add_nc_u64 s[18:19], s[20:21], s[18:19]
	s_add_co_u32 s14, s14, s18
	s_cselect_b32 s2, -1, 0
	s_delay_alu instid0(SALU_CYCLE_1) | instskip(SKIP_1) | instid1(SALU_CYCLE_1)
	s_cmp_lg_u32 s2, 0
	s_add_co_ci_u32 s15, s15, s19
	s_mul_u64 s[16:17], s[16:17], s[14:15]
	s_delay_alu instid0(SALU_CYCLE_1)
	s_mul_hi_u32 s19, s14, s17
	s_mul_i32 s18, s14, s17
	s_mul_hi_u32 s20, s14, s16
	s_mul_i32 s7, s15, s16
	s_add_nc_u64 s[18:19], s[20:21], s[18:19]
	s_mul_hi_u32 s2, s15, s16
	s_mul_hi_u32 s13, s15, s17
	s_add_co_u32 s7, s18, s7
	s_add_co_ci_u32 s20, s19, s2
	s_mul_i32 s16, s15, s17
	s_add_co_ci_u32 s17, s13, 0
	s_delay_alu instid0(SALU_CYCLE_1) | instskip(NEXT) | instid1(SALU_CYCLE_1)
	s_add_nc_u64 s[16:17], s[20:21], s[16:17]
	s_add_co_u32 s2, s14, s16
	s_cselect_b32 s7, -1, 0
	v_mul_hi_u32 v20, v12, s2
	s_cmp_lg_u32 s7, 0
	s_add_co_ci_u32 s20, s15, s17
	s_mov_b64 s[14:15], 0xffffffff
	v_mul_u64_e32 v[16:17], s[20:21], v[12:13]
	s_and_b64 s[14:15], s[2:3], s[14:15]
	v_mul_u64_e32 v[18:19], s[20:21], v[14:15]
	v_mul_u64_e32 v[10:11], s[14:15], v[14:15]
	s_delay_alu instid0(VALU_DEP_3) | instskip(NEXT) | instid1(VALU_DEP_1)
	v_add_nc_u64_e32 v[16:17], v[20:21], v[16:17]
	v_add_co_u32 v3, vcc_lo, v16, v10
	s_delay_alu instid0(VALU_DEP_2) | instskip(SKIP_1) | instid1(VALU_DEP_1)
	v_add_co_ci_u32_e32 v8, vcc_lo, v17, v11, vcc_lo
	v_add_co_ci_u32_e32 v19, vcc_lo, 0, v19, vcc_lo
	v_add_nc_u64_e32 v[8:9], v[8:9], v[18:19]
	s_delay_alu instid0(VALU_DEP_1) | instskip(NEXT) | instid1(VALU_DEP_1)
	v_mul_u64_e32 v[8:9], s[4:5], v[8:9]
	v_sub_co_u32 v8, vcc_lo, v12, v8
	s_delay_alu instid0(VALU_DEP_1) | instskip(NEXT) | instid1(VALU_DEP_1)
	v_cmp_le_u32_e64 s2, s4, v8
	v_cndmask_b32_e64 v12, 0, -1, s2
	s_delay_alu instid0(VALU_DEP_4) | instskip(SKIP_1) | instid1(VALU_DEP_2)
	v_sub_nc_u32_e32 v3, v14, v9
	v_sub_co_ci_u32_e64 v9, null, v14, v9, vcc_lo
	v_subrev_co_ci_u32_e64 v3, null, s5, v3, vcc_lo
	v_sub_co_u32 v10, vcc_lo, v8, s4
	s_delay_alu instid0(VALU_DEP_1) | instskip(NEXT) | instid1(VALU_DEP_2)
	v_subrev_co_ci_u32_e64 v11, null, 0, v3, vcc_lo
	v_cmp_le_u32_e64 s2, s4, v10
	v_subrev_co_ci_u32_e64 v3, null, s5, v3, vcc_lo
	v_cmp_le_u32_e32 vcc_lo, s5, v9
	s_delay_alu instid0(VALU_DEP_3) | instskip(SKIP_3) | instid1(VALU_DEP_3)
	v_cndmask_b32_e64 v13, 0, -1, s2
	v_cmp_le_u32_e64 s2, s5, v11
	v_cndmask_b32_e64 v15, 0, -1, vcc_lo
	v_cmp_eq_u32_e32 vcc_lo, s5, v11
	v_cndmask_b32_e64 v14, 0, -1, s2
	v_cmp_eq_u32_e64 s2, s5, v9
	s_delay_alu instid0(VALU_DEP_2) | instskip(SKIP_1) | instid1(VALU_DEP_1)
	v_cndmask_b32_e32 v13, v14, v13, vcc_lo
	v_sub_co_u32 v14, vcc_lo, v10, s4
	v_subrev_co_ci_u32_e64 v3, null, 0, v3, vcc_lo
	s_delay_alu instid0(VALU_DEP_3) | instskip(SKIP_1) | instid1(VALU_DEP_3)
	v_cmp_ne_u32_e32 vcc_lo, 0, v13
	v_cndmask_b32_e64 v12, v15, v12, s2
	v_dual_cndmask_b32 v3, v11, v3 :: v_dual_cndmask_b32 v10, v10, v14
	s_delay_alu instid0(VALU_DEP_2) | instskip(NEXT) | instid1(VALU_DEP_2)
	v_cmp_ne_u32_e32 vcc_lo, 0, v12
	v_dual_cndmask_b32 v3, v9, v3 :: v_dual_cndmask_b32 v8, v8, v10
	s_delay_alu instid0(VALU_DEP_1) | instskip(NEXT) | instid1(VALU_DEP_2)
	v_xor_b32_e32 v9, v3, v6
	v_xor_b32_e32 v8, v8, v6
	s_delay_alu instid0(VALU_DEP_1)
	v_sub_nc_u64_e32 v[6:7], v[8:9], v[6:7]
.LBB50_7:
	s_and_not1_saveexec_b32 s2, s12
	s_cbranch_execz .LBB50_9
; %bb.8:
	v_cvt_f32_u32_e32 v3, s6
	s_sub_co_i32 s4, 0, s6
	s_delay_alu instid0(VALU_DEP_1) | instskip(SKIP_1) | instid1(TRANS32_DEP_1)
	v_rcp_iflag_f32_e32 v3, v3
	v_nop
	v_mul_f32_e32 v3, 0x4f7ffffe, v3
	s_delay_alu instid0(VALU_DEP_1) | instskip(NEXT) | instid1(VALU_DEP_1)
	v_cvt_u32_f32_e32 v3, v3
	v_mul_lo_u32 v6, s4, v3
	s_delay_alu instid0(VALU_DEP_1) | instskip(NEXT) | instid1(VALU_DEP_1)
	v_mul_hi_u32 v6, v3, v6
	v_add_nc_u32_e32 v3, v3, v6
	s_delay_alu instid0(VALU_DEP_1) | instskip(NEXT) | instid1(VALU_DEP_1)
	v_mul_hi_u32 v3, v4, v3
	v_mul_lo_u32 v3, v3, s6
	s_delay_alu instid0(VALU_DEP_1) | instskip(NEXT) | instid1(VALU_DEP_1)
	v_sub_nc_u32_e32 v3, v4, v3
	v_subrev_nc_u32_e32 v6, s6, v3
	v_cmp_le_u32_e32 vcc_lo, s6, v3
	s_delay_alu instid0(VALU_DEP_2) | instskip(NEXT) | instid1(VALU_DEP_1)
	v_cndmask_b32_e32 v3, v3, v6, vcc_lo
	v_subrev_nc_u32_e32 v6, s6, v3
	v_cmp_le_u32_e32 vcc_lo, s6, v3
	s_delay_alu instid0(VALU_DEP_2)
	v_cndmask_b32_e32 v6, v3, v6, vcc_lo
.LBB50_9:
	s_or_b32 exec_lo, exec_lo, s2
	v_dual_mov_b32 v10, 0 :: v_dual_bitop2_b32 v11, s11, v1 bitop3:0x54
                                        ; implicit-def: $vgpr8_vgpr9
	s_mov_b32 s2, exec_lo
	s_delay_alu instid0(VALU_DEP_1)
	v_cmpx_ne_u64_e32 0, v[10:11]
	s_xor_b32 s12, exec_lo, s2
	s_cbranch_execz .LBB50_11
; %bb.10:
	s_ashr_i32 s4, s11, 31
	s_mov_b32 s21, 0
	s_mov_b32 s5, s4
	v_dual_mov_b32 v3, v2 :: v_dual_mov_b32 v13, v10
	s_add_nc_u64 s[6:7], s[10:11], s[4:5]
	v_mov_b32_e32 v11, v10
	s_xor_b64 s[6:7], s[6:7], s[4:5]
	s_delay_alu instid0(VALU_DEP_2) | instskip(SKIP_4) | instid1(SALU_CYCLE_1)
	v_add_nc_u64_e32 v[8:9], v[0:1], v[2:3]
	s_cvt_f32_u32 s2, s6
	s_cvt_f32_u32 s5, s7
	s_sub_nc_u64 s[16:17], 0, s[6:7]
	v_dual_mov_b32 v15, v10 :: v_dual_mov_b32 v21, v10
	s_fmamk_f32 s2, s5, 0x4f800000, s2
	s_delay_alu instid0(VALU_DEP_2) | instskip(SKIP_3) | instid1(TRANS32_DEP_1)
	v_xor_b32_e32 v12, v8, v2
	v_xor_b32_e32 v14, v9, v2
	;; [unrolled: 1-line block ×3, first 2 shown]
	v_s_rcp_f32 s2, s2
	s_mul_f32 s2, s2, 0x5f7ffffc
	s_delay_alu instid0(SALU_CYCLE_3) | instskip(NEXT) | instid1(SALU_CYCLE_3)
	s_mul_f32 s5, s2, 0x2f800000
	s_trunc_f32 s5, s5
	s_delay_alu instid0(SALU_CYCLE_3) | instskip(SKIP_1) | instid1(SALU_CYCLE_2)
	s_fmamk_f32 s2, s5, 0xcf800000, s2
	s_cvt_u32_f32 s15, s5
	s_cvt_u32_f32 s14, s2
	s_delay_alu instid0(SALU_CYCLE_3) | instskip(NEXT) | instid1(SALU_CYCLE_1)
	s_mul_u64 s[18:19], s[16:17], s[14:15]
	s_mul_hi_u32 s23, s14, s19
	s_mul_i32 s22, s14, s19
	s_mul_hi_u32 s20, s14, s18
	s_mul_i32 s5, s15, s18
	s_add_nc_u64 s[22:23], s[20:21], s[22:23]
	s_mul_hi_u32 s2, s15, s18
	s_mul_hi_u32 s11, s15, s19
	s_add_co_u32 s5, s22, s5
	s_add_co_ci_u32 s20, s23, s2
	s_mul_i32 s18, s15, s19
	s_add_co_ci_u32 s19, s11, 0
	s_delay_alu instid0(SALU_CYCLE_1) | instskip(NEXT) | instid1(SALU_CYCLE_1)
	s_add_nc_u64 s[18:19], s[20:21], s[18:19]
	s_add_co_u32 s14, s14, s18
	s_cselect_b32 s2, -1, 0
	s_delay_alu instid0(SALU_CYCLE_1) | instskip(SKIP_1) | instid1(SALU_CYCLE_1)
	s_cmp_lg_u32 s2, 0
	s_add_co_ci_u32 s15, s15, s19
	s_mul_u64 s[16:17], s[16:17], s[14:15]
	s_delay_alu instid0(SALU_CYCLE_1)
	s_mul_hi_u32 s19, s14, s17
	s_mul_i32 s18, s14, s17
	s_mul_hi_u32 s20, s14, s16
	s_mul_i32 s5, s15, s16
	s_add_nc_u64 s[18:19], s[20:21], s[18:19]
	s_mul_hi_u32 s2, s15, s16
	s_mul_hi_u32 s11, s15, s17
	s_add_co_u32 s5, s18, s5
	s_add_co_ci_u32 s20, s19, s2
	s_mul_i32 s16, s15, s17
	s_add_co_ci_u32 s17, s11, 0
	s_delay_alu instid0(SALU_CYCLE_1) | instskip(NEXT) | instid1(SALU_CYCLE_1)
	s_add_nc_u64 s[16:17], s[20:21], s[16:17]
	s_add_co_u32 s2, s14, s16
	s_cselect_b32 s5, -1, 0
	v_nop
	v_mul_hi_u32 v20, v12, s2
	s_cmp_lg_u32 s5, 0
	s_add_co_ci_u32 s20, s15, s17
	s_mov_b64 s[14:15], 0xffffffff
	v_mul_u64_e32 v[16:17], s[20:21], v[12:13]
	s_and_b64 s[14:15], s[2:3], s[14:15]
	v_mul_u64_e32 v[18:19], s[20:21], v[14:15]
	v_mul_u64_e32 v[8:9], s[14:15], v[14:15]
	s_delay_alu instid0(VALU_DEP_3) | instskip(NEXT) | instid1(VALU_DEP_1)
	v_add_nc_u64_e32 v[16:17], v[20:21], v[16:17]
	v_add_co_u32 v3, vcc_lo, v16, v8
	s_delay_alu instid0(VALU_DEP_2) | instskip(SKIP_1) | instid1(VALU_DEP_1)
	v_add_co_ci_u32_e32 v10, vcc_lo, v17, v9, vcc_lo
	v_add_co_ci_u32_e32 v19, vcc_lo, 0, v19, vcc_lo
	v_add_nc_u64_e32 v[8:9], v[10:11], v[18:19]
	s_delay_alu instid0(VALU_DEP_1) | instskip(NEXT) | instid1(VALU_DEP_1)
	v_mul_u64_e32 v[10:11], s[6:7], v[8:9]
	v_sub_co_u32 v7, vcc_lo, v12, v10
	v_add_nc_u64_e32 v[12:13], 1, v[8:9]
	s_delay_alu instid0(VALU_DEP_3) | instskip(SKIP_1) | instid1(VALU_DEP_4)
	v_sub_nc_u32_e32 v3, v14, v11
	v_sub_co_ci_u32_e64 v14, null, v14, v11, vcc_lo
	v_sub_co_u32 v10, s2, v7, s6
	s_delay_alu instid0(VALU_DEP_3) | instskip(NEXT) | instid1(VALU_DEP_2)
	v_subrev_co_ci_u32_e64 v3, null, s7, v3, vcc_lo
	v_cmp_le_u32_e32 vcc_lo, s6, v10
	s_delay_alu instid0(VALU_DEP_2) | instskip(SKIP_1) | instid1(VALU_DEP_2)
	v_subrev_co_ci_u32_e64 v3, null, 0, v3, s2
	v_cndmask_b32_e64 v10, 0, -1, vcc_lo
	v_cmp_le_u32_e32 vcc_lo, s7, v3
	v_cndmask_b32_e64 v11, 0, -1, vcc_lo
	v_cmp_le_u32_e32 vcc_lo, s6, v7
	;; [unrolled: 2-line block ×3, first 2 shown]
	v_cndmask_b32_e64 v15, 0, -1, vcc_lo
	v_cmp_eq_u32_e32 vcc_lo, s7, v3
	v_cndmask_b32_e32 v3, v11, v10, vcc_lo
	v_cmp_eq_u32_e32 vcc_lo, s7, v14
	v_add_nc_u64_e32 v[10:11], 2, v[8:9]
	v_cndmask_b32_e32 v7, v15, v7, vcc_lo
	s_delay_alu instid0(VALU_DEP_4) | instskip(NEXT) | instid1(VALU_DEP_2)
	v_cmp_ne_u32_e32 vcc_lo, 0, v3
	v_cmp_ne_u32_e64 s2, 0, v7
	s_delay_alu instid0(VALU_DEP_4) | instskip(NEXT) | instid1(VALU_DEP_1)
	v_dual_cndmask_b32 v3, v13, v11, vcc_lo :: v_dual_cndmask_b32 v7, v12, v10, vcc_lo
	v_dual_cndmask_b32 v9, v9, v3, s2 :: v_dual_mov_b32 v3, v2
	s_delay_alu instid0(VALU_DEP_1) | instskip(NEXT) | instid1(VALU_DEP_1)
	v_dual_cndmask_b32 v7, v8, v7, s2 :: v_dual_bitop2_b32 v9, v9, v2 bitop3:0x14
	v_xor_b32_e32 v8, v7, v2
	s_delay_alu instid0(VALU_DEP_1)
	v_sub_nc_u64_e32 v[8:9], v[8:9], v[2:3]
.LBB50_11:
	s_and_not1_saveexec_b32 s2, s12
	s_cbranch_execz .LBB50_13
; %bb.12:
	v_cvt_f32_u32_e32 v2, s10
	s_sub_co_i32 s4, 0, s10
	s_delay_alu instid0(VALU_DEP_1) | instskip(SKIP_1) | instid1(TRANS32_DEP_1)
	v_rcp_iflag_f32_e32 v2, v2
	v_nop
	v_mul_f32_e32 v2, 0x4f7ffffe, v2
	s_delay_alu instid0(VALU_DEP_1) | instskip(NEXT) | instid1(VALU_DEP_1)
	v_cvt_u32_f32_e32 v2, v2
	v_mul_lo_u32 v3, s4, v2
	s_delay_alu instid0(VALU_DEP_1) | instskip(NEXT) | instid1(VALU_DEP_1)
	v_mul_hi_u32 v3, v2, v3
	v_add_nc_u32_e32 v2, v2, v3
	s_delay_alu instid0(VALU_DEP_1) | instskip(NEXT) | instid1(VALU_DEP_1)
	v_mul_hi_u32 v2, v0, v2
	v_mul_lo_u32 v3, v2, s10
	s_delay_alu instid0(VALU_DEP_1) | instskip(NEXT) | instid1(VALU_DEP_1)
	v_dual_add_nc_u32 v7, 1, v2 :: v_dual_sub_nc_u32 v3, v0, v3
	v_subrev_nc_u32_e32 v8, s10, v3
	v_cmp_le_u32_e32 vcc_lo, s10, v3
	s_delay_alu instid0(VALU_DEP_2) | instskip(NEXT) | instid1(VALU_DEP_1)
	v_dual_cndmask_b32 v3, v3, v8 :: v_dual_cndmask_b32 v2, v2, v7
	v_cmp_le_u32_e32 vcc_lo, s10, v3
	s_delay_alu instid0(VALU_DEP_2) | instskip(NEXT) | instid1(VALU_DEP_1)
	v_add_nc_u32_e32 v7, 1, v2
	v_cndmask_b32_e32 v8, v2, v7, vcc_lo
.LBB50_13:
	s_or_b32 exec_lo, exec_lo, s2
	v_mul_u64_e32 v[2:3], s[8:9], v[4:5]
	s_clause 0x1
	s_load_b128 s[20:23], s[0:1], 0xb0
	s_load_b512 s[4:19], s[0:1], 0x18
	s_bfe_u32 s2, ttmp6, 0x40014
	s_wait_kmcnt 0x0
	s_bfe_u32 s7, ttmp6, 0x40010
	s_lshr_b32 s24, ttmp7, 16
	s_and_b32 s5, ttmp7, 0xffff
	s_add_co_i32 s2, s2, 1
	s_add_co_i32 s7, s7, 1
	s_bfe_u32 s25, ttmp6, 0x40008
	s_bfe_u32 s9, ttmp6, 0x40004
	s_mul_i32 s2, s24, s2
	s_mul_i32 s7, s5, s7
	s_add_co_i32 s25, s25, s2
	s_add_co_i32 s9, s9, s7
	s_cmp_eq_u32 s3, 0
	s_load_b64 s[2:3], s[0:1], 0xa8
	s_cselect_b32 s7, s5, s9
	s_cselect_b32 s9, s24, s25
	v_dual_ashrrev_i32 v9, 31, v8 :: v_dual_ashrrev_i32 v7, 31, v6
	s_sub_co_i32 s25, 0, s20
	s_add_co_i32 s4, s20, s4
	s_sub_co_i32 s24, 0, s21
	s_add_co_i32 s4, s4, -1
	s_max_i32 s28, s20, 0
	v_maxmin_i32 v4, s20, v8, s4
	s_add_co_i32 s6, s21, s6
	s_max_i32 s25, s25, 0
	s_max_i32 s27, s21, 0
	;; [unrolled: 1-line block ×3, first 2 shown]
	s_add_co_i32 s4, s22, s8
	v_sub_nc_u64_e32 v[0:1], v[0:1], v[2:3]
	s_add_co_i32 s6, s6, -1
	s_sub_co_i32 s8, s25, s28
	v_maxmin_i32 v3, s21, v6, s6
	s_sub_co_i32 s6, s24, s27
	v_add_nc_u32_e32 v2, s8, v4
	s_sub_co_i32 s5, 0, s22
	s_max_i32 s26, s22, 0
	s_max_i32 s5, s5, 0
	s_add_co_i32 s4, s4, -1
	v_add_nc_u32_e32 v4, s6, v3
	v_maxmin_i32 v5, s22, v0, s4
	s_sub_co_i32 s4, s5, s26
	v_ashrrev_i32_e32 v3, 31, v2
	s_load_b32 s6, s[0:1], 0xc0
	s_delay_alu instid0(VALU_DEP_2) | instskip(NEXT) | instid1(VALU_DEP_2)
	v_dual_add_nc_u32 v10, s4, v5 :: v_dual_ashrrev_i32 v5, 31, v4
	v_mul_u64_e32 v[2:3], s[14:15], v[2:3]
	s_load_b64 s[4:5], s[0:1], 0x0
	s_wait_kmcnt 0x0
	v_mul_u64_e32 v[0:1], s[2:3], v[0:1]
	v_ashrrev_i32_e32 v11, 31, v10
	v_mul_u64_e32 v[4:5], s[16:17], v[4:5]
	s_add_co_i32 s16, s23, s7
	s_delay_alu instid0(SALU_CYCLE_1) | instskip(NEXT) | instid1(VALU_DEP_2)
	s_ashr_i32 s17, s16, 31
	v_mul_u64_e32 v[10:11], s[18:19], v[10:11]
	s_add_co_i32 s14, s6, s9
	s_mul_u64 s[8:9], s[12:13], s[16:17]
	s_ashr_i32 s15, s14, 31
	s_delay_alu instid0(SALU_CYCLE_1) | instskip(NEXT) | instid1(SALU_CYCLE_1)
	s_mul_u64 s[6:7], s[10:11], s[14:15]
	s_lshl_b64 s[6:7], s[6:7], 1
	s_delay_alu instid0(SALU_CYCLE_1) | instskip(SKIP_1) | instid1(SALU_CYCLE_1)
	s_add_nc_u64 s[4:5], s[4:5], s[6:7]
	s_lshl_b64 s[6:7], s[8:9], 1
	s_add_nc_u64 s[4:5], s[4:5], s[6:7]
	s_delay_alu instid0(SALU_CYCLE_1) | instskip(SKIP_1) | instid1(VALU_DEP_1)
	v_lshl_add_u64 v[2:3], v[2:3], 1, s[4:5]
	s_load_b256 s[4:11], s[0:1], 0x88
	v_lshl_add_u64 v[2:3], v[4:5], 1, v[2:3]
	s_wait_xcnt 0x0
	s_load_b64 s[0:1], s[0:1], 0x58
	s_delay_alu instid0(VALU_DEP_1)
	v_lshl_add_u64 v[2:3], v[10:11], 1, v[2:3]
	global_load_u16 v10, v[2:3], off
	s_wait_kmcnt 0x0
	v_mul_u64_e32 v[2:3], s[8:9], v[8:9]
	v_mul_u64_e32 v[4:5], s[10:11], v[6:7]
	s_mul_u64 s[2:3], s[4:5], s[14:15]
	s_mul_u64 s[4:5], s[6:7], s[16:17]
	s_lshl_b64 s[2:3], s[2:3], 1
	s_delay_alu instid0(SALU_CYCLE_1) | instskip(SKIP_1) | instid1(SALU_CYCLE_1)
	s_add_nc_u64 s[0:1], s[0:1], s[2:3]
	s_lshl_b64 s[2:3], s[4:5], 1
	s_add_nc_u64 s[0:1], s[0:1], s[2:3]
	s_delay_alu instid0(VALU_DEP_2) | instid1(SALU_CYCLE_1)
	v_lshl_add_u64 v[2:3], v[2:3], 1, s[0:1]
	s_delay_alu instid0(VALU_DEP_1) | instskip(NEXT) | instid1(VALU_DEP_1)
	v_lshl_add_u64 v[2:3], v[4:5], 1, v[2:3]
	v_lshl_add_u64 v[0:1], v[0:1], 1, v[2:3]
	s_wait_loadcnt 0x0
	global_store_b16 v[0:1], v10, off
.LBB50_14:
	s_endpgm
	.section	.rodata,"a",@progbits
	.p2align	6, 0x0
	.amdhsa_kernel _ZN2at6native12_GLOBAL__N_132replication_pad_forward_kernel3dIN3c108BFloat16EEEvN5torch10headeronly6detail27GenericPackedTensorAccessorINS7_14TensorAccessorINS3_8ArrayRefIlEEKT_Lm4ENS6_16DefaultPtrTraitsElEENS_6detail16IndexBoundsCheckILm5ElEESD_Lm5ESE_lEENS8_INS9_ISB_SC_Lm4ESE_lEESI_SC_Lm5ESE_lEEiiiii
		.amdhsa_group_segment_fixed_size 0
		.amdhsa_private_segment_fixed_size 0
		.amdhsa_kernarg_size 456
		.amdhsa_user_sgpr_count 2
		.amdhsa_user_sgpr_dispatch_ptr 0
		.amdhsa_user_sgpr_queue_ptr 0
		.amdhsa_user_sgpr_kernarg_segment_ptr 1
		.amdhsa_user_sgpr_dispatch_id 0
		.amdhsa_user_sgpr_kernarg_preload_length 0
		.amdhsa_user_sgpr_kernarg_preload_offset 0
		.amdhsa_user_sgpr_private_segment_size 0
		.amdhsa_wavefront_size32 1
		.amdhsa_uses_dynamic_stack 0
		.amdhsa_enable_private_segment 0
		.amdhsa_system_sgpr_workgroup_id_x 1
		.amdhsa_system_sgpr_workgroup_id_y 1
		.amdhsa_system_sgpr_workgroup_id_z 1
		.amdhsa_system_sgpr_workgroup_info 0
		.amdhsa_system_vgpr_workitem_id 0
		.amdhsa_next_free_vgpr 22
		.amdhsa_next_free_sgpr 29
		.amdhsa_named_barrier_count 0
		.amdhsa_reserve_vcc 1
		.amdhsa_float_round_mode_32 0
		.amdhsa_float_round_mode_16_64 0
		.amdhsa_float_denorm_mode_32 3
		.amdhsa_float_denorm_mode_16_64 3
		.amdhsa_fp16_overflow 0
		.amdhsa_memory_ordered 1
		.amdhsa_forward_progress 1
		.amdhsa_inst_pref_size 23
		.amdhsa_round_robin_scheduling 0
		.amdhsa_exception_fp_ieee_invalid_op 0
		.amdhsa_exception_fp_denorm_src 0
		.amdhsa_exception_fp_ieee_div_zero 0
		.amdhsa_exception_fp_ieee_overflow 0
		.amdhsa_exception_fp_ieee_underflow 0
		.amdhsa_exception_fp_ieee_inexact 0
		.amdhsa_exception_int_div_zero 0
	.end_amdhsa_kernel
	.section	.text._ZN2at6native12_GLOBAL__N_132replication_pad_forward_kernel3dIN3c108BFloat16EEEvN5torch10headeronly6detail27GenericPackedTensorAccessorINS7_14TensorAccessorINS3_8ArrayRefIlEEKT_Lm4ENS6_16DefaultPtrTraitsElEENS_6detail16IndexBoundsCheckILm5ElEESD_Lm5ESE_lEENS8_INS9_ISB_SC_Lm4ESE_lEESI_SC_Lm5ESE_lEEiiiii,"axG",@progbits,_ZN2at6native12_GLOBAL__N_132replication_pad_forward_kernel3dIN3c108BFloat16EEEvN5torch10headeronly6detail27GenericPackedTensorAccessorINS7_14TensorAccessorINS3_8ArrayRefIlEEKT_Lm4ENS6_16DefaultPtrTraitsElEENS_6detail16IndexBoundsCheckILm5ElEESD_Lm5ESE_lEENS8_INS9_ISB_SC_Lm4ESE_lEESI_SC_Lm5ESE_lEEiiiii,comdat
.Lfunc_end50:
	.size	_ZN2at6native12_GLOBAL__N_132replication_pad_forward_kernel3dIN3c108BFloat16EEEvN5torch10headeronly6detail27GenericPackedTensorAccessorINS7_14TensorAccessorINS3_8ArrayRefIlEEKT_Lm4ENS6_16DefaultPtrTraitsElEENS_6detail16IndexBoundsCheckILm5ElEESD_Lm5ESE_lEENS8_INS9_ISB_SC_Lm4ESE_lEESI_SC_Lm5ESE_lEEiiiii, .Lfunc_end50-_ZN2at6native12_GLOBAL__N_132replication_pad_forward_kernel3dIN3c108BFloat16EEEvN5torch10headeronly6detail27GenericPackedTensorAccessorINS7_14TensorAccessorINS3_8ArrayRefIlEEKT_Lm4ENS6_16DefaultPtrTraitsElEENS_6detail16IndexBoundsCheckILm5ElEESD_Lm5ESE_lEENS8_INS9_ISB_SC_Lm4ESE_lEESI_SC_Lm5ESE_lEEiiiii
                                        ; -- End function
	.set _ZN2at6native12_GLOBAL__N_132replication_pad_forward_kernel3dIN3c108BFloat16EEEvN5torch10headeronly6detail27GenericPackedTensorAccessorINS7_14TensorAccessorINS3_8ArrayRefIlEEKT_Lm4ENS6_16DefaultPtrTraitsElEENS_6detail16IndexBoundsCheckILm5ElEESD_Lm5ESE_lEENS8_INS9_ISB_SC_Lm4ESE_lEESI_SC_Lm5ESE_lEEiiiii.num_vgpr, 22
	.set _ZN2at6native12_GLOBAL__N_132replication_pad_forward_kernel3dIN3c108BFloat16EEEvN5torch10headeronly6detail27GenericPackedTensorAccessorINS7_14TensorAccessorINS3_8ArrayRefIlEEKT_Lm4ENS6_16DefaultPtrTraitsElEENS_6detail16IndexBoundsCheckILm5ElEESD_Lm5ESE_lEENS8_INS9_ISB_SC_Lm4ESE_lEESI_SC_Lm5ESE_lEEiiiii.num_agpr, 0
	.set _ZN2at6native12_GLOBAL__N_132replication_pad_forward_kernel3dIN3c108BFloat16EEEvN5torch10headeronly6detail27GenericPackedTensorAccessorINS7_14TensorAccessorINS3_8ArrayRefIlEEKT_Lm4ENS6_16DefaultPtrTraitsElEENS_6detail16IndexBoundsCheckILm5ElEESD_Lm5ESE_lEENS8_INS9_ISB_SC_Lm4ESE_lEESI_SC_Lm5ESE_lEEiiiii.numbered_sgpr, 29
	.set _ZN2at6native12_GLOBAL__N_132replication_pad_forward_kernel3dIN3c108BFloat16EEEvN5torch10headeronly6detail27GenericPackedTensorAccessorINS7_14TensorAccessorINS3_8ArrayRefIlEEKT_Lm4ENS6_16DefaultPtrTraitsElEENS_6detail16IndexBoundsCheckILm5ElEESD_Lm5ESE_lEENS8_INS9_ISB_SC_Lm4ESE_lEESI_SC_Lm5ESE_lEEiiiii.num_named_barrier, 0
	.set _ZN2at6native12_GLOBAL__N_132replication_pad_forward_kernel3dIN3c108BFloat16EEEvN5torch10headeronly6detail27GenericPackedTensorAccessorINS7_14TensorAccessorINS3_8ArrayRefIlEEKT_Lm4ENS6_16DefaultPtrTraitsElEENS_6detail16IndexBoundsCheckILm5ElEESD_Lm5ESE_lEENS8_INS9_ISB_SC_Lm4ESE_lEESI_SC_Lm5ESE_lEEiiiii.private_seg_size, 0
	.set _ZN2at6native12_GLOBAL__N_132replication_pad_forward_kernel3dIN3c108BFloat16EEEvN5torch10headeronly6detail27GenericPackedTensorAccessorINS7_14TensorAccessorINS3_8ArrayRefIlEEKT_Lm4ENS6_16DefaultPtrTraitsElEENS_6detail16IndexBoundsCheckILm5ElEESD_Lm5ESE_lEENS8_INS9_ISB_SC_Lm4ESE_lEESI_SC_Lm5ESE_lEEiiiii.uses_vcc, 1
	.set _ZN2at6native12_GLOBAL__N_132replication_pad_forward_kernel3dIN3c108BFloat16EEEvN5torch10headeronly6detail27GenericPackedTensorAccessorINS7_14TensorAccessorINS3_8ArrayRefIlEEKT_Lm4ENS6_16DefaultPtrTraitsElEENS_6detail16IndexBoundsCheckILm5ElEESD_Lm5ESE_lEENS8_INS9_ISB_SC_Lm4ESE_lEESI_SC_Lm5ESE_lEEiiiii.uses_flat_scratch, 0
	.set _ZN2at6native12_GLOBAL__N_132replication_pad_forward_kernel3dIN3c108BFloat16EEEvN5torch10headeronly6detail27GenericPackedTensorAccessorINS7_14TensorAccessorINS3_8ArrayRefIlEEKT_Lm4ENS6_16DefaultPtrTraitsElEENS_6detail16IndexBoundsCheckILm5ElEESD_Lm5ESE_lEENS8_INS9_ISB_SC_Lm4ESE_lEESI_SC_Lm5ESE_lEEiiiii.has_dyn_sized_stack, 0
	.set _ZN2at6native12_GLOBAL__N_132replication_pad_forward_kernel3dIN3c108BFloat16EEEvN5torch10headeronly6detail27GenericPackedTensorAccessorINS7_14TensorAccessorINS3_8ArrayRefIlEEKT_Lm4ENS6_16DefaultPtrTraitsElEENS_6detail16IndexBoundsCheckILm5ElEESD_Lm5ESE_lEENS8_INS9_ISB_SC_Lm4ESE_lEESI_SC_Lm5ESE_lEEiiiii.has_recursion, 0
	.set _ZN2at6native12_GLOBAL__N_132replication_pad_forward_kernel3dIN3c108BFloat16EEEvN5torch10headeronly6detail27GenericPackedTensorAccessorINS7_14TensorAccessorINS3_8ArrayRefIlEEKT_Lm4ENS6_16DefaultPtrTraitsElEENS_6detail16IndexBoundsCheckILm5ElEESD_Lm5ESE_lEENS8_INS9_ISB_SC_Lm4ESE_lEESI_SC_Lm5ESE_lEEiiiii.has_indirect_call, 0
	.section	.AMDGPU.csdata,"",@progbits
; Kernel info:
; codeLenInByte = 2900
; TotalNumSgprs: 31
; NumVgprs: 22
; ScratchSize: 0
; MemoryBound: 0
; FloatMode: 240
; IeeeMode: 1
; LDSByteSize: 0 bytes/workgroup (compile time only)
; SGPRBlocks: 0
; VGPRBlocks: 1
; NumSGPRsForWavesPerEU: 31
; NumVGPRsForWavesPerEU: 22
; NamedBarCnt: 0
; Occupancy: 16
; WaveLimiterHint : 1
; COMPUTE_PGM_RSRC2:SCRATCH_EN: 0
; COMPUTE_PGM_RSRC2:USER_SGPR: 2
; COMPUTE_PGM_RSRC2:TRAP_HANDLER: 0
; COMPUTE_PGM_RSRC2:TGID_X_EN: 1
; COMPUTE_PGM_RSRC2:TGID_Y_EN: 1
; COMPUTE_PGM_RSRC2:TGID_Z_EN: 1
; COMPUTE_PGM_RSRC2:TIDIG_COMP_CNT: 0
	.section	.AMDGPU.gpr_maximums,"",@progbits
	.set amdgpu.max_num_vgpr, 0
	.set amdgpu.max_num_agpr, 0
	.set amdgpu.max_num_sgpr, 0
	.section	.AMDGPU.csdata,"",@progbits
	.type	__hip_cuid_6ede014e14171f2,@object ; @__hip_cuid_6ede014e14171f2
	.section	.bss,"aw",@nobits
	.globl	__hip_cuid_6ede014e14171f2
__hip_cuid_6ede014e14171f2:
	.byte	0                               ; 0x0
	.size	__hip_cuid_6ede014e14171f2, 1

	.ident	"AMD clang version 22.0.0git (https://github.com/RadeonOpenCompute/llvm-project roc-7.2.4 26084 f58b06dce1f9c15707c5f808fd002e18c2accf7e)"
	.section	".note.GNU-stack","",@progbits
	.addrsig
	.addrsig_sym __hip_cuid_6ede014e14171f2
	.amdgpu_metadata
---
amdhsa.kernels:
  - .args:
      - .offset:         0
        .size:           72
        .value_kind:     by_value
      - .offset:         72
        .size:           72
        .value_kind:     by_value
      - .offset:         144
        .size:           4
        .value_kind:     by_value
      - .offset:         148
        .size:           4
        .value_kind:     by_value
      - .offset:         152
        .size:           4
        .value_kind:     by_value
      - .offset:         156
        .size:           4
        .value_kind:     by_value
      - .offset:         160
        .size:           4
        .value_kind:     hidden_block_count_x
      - .offset:         164
        .size:           4
        .value_kind:     hidden_block_count_y
      - .offset:         168
        .size:           4
        .value_kind:     hidden_block_count_z
      - .offset:         172
        .size:           2
        .value_kind:     hidden_group_size_x
      - .offset:         174
        .size:           2
        .value_kind:     hidden_group_size_y
      - .offset:         176
        .size:           2
        .value_kind:     hidden_group_size_z
      - .offset:         178
        .size:           2
        .value_kind:     hidden_remainder_x
      - .offset:         180
        .size:           2
        .value_kind:     hidden_remainder_y
      - .offset:         182
        .size:           2
        .value_kind:     hidden_remainder_z
      - .offset:         200
        .size:           8
        .value_kind:     hidden_global_offset_x
      - .offset:         208
        .size:           8
        .value_kind:     hidden_global_offset_y
      - .offset:         216
        .size:           8
        .value_kind:     hidden_global_offset_z
      - .offset:         224
        .size:           2
        .value_kind:     hidden_grid_dims
    .group_segment_fixed_size: 0
    .kernarg_segment_align: 8
    .kernarg_segment_size: 416
    .language:       OpenCL C
    .language_version:
      - 2
      - 0
    .max_flat_workgroup_size: 1024
    .name:           _ZN2at6native12_GLOBAL__N_131replication_pad_backward_kernelIdEEvN5torch10headeronly6detail27GenericPackedTensorAccessorINS5_14TensorAccessorIN3c108ArrayRefIlEET_Lm3ENS4_16DefaultPtrTraitsElEENS_6detail16IndexBoundsCheckILm4ElEESB_Lm4ESC_lEENS6_INS7_ISA_KSB_Lm3ESC_lEESG_SI_Lm4ESC_lEEiiii
    .private_segment_fixed_size: 0
    .sgpr_count:     24
    .sgpr_spill_count: 0
    .symbol:         _ZN2at6native12_GLOBAL__N_131replication_pad_backward_kernelIdEEvN5torch10headeronly6detail27GenericPackedTensorAccessorINS5_14TensorAccessorIN3c108ArrayRefIlEET_Lm3ENS4_16DefaultPtrTraitsElEENS_6detail16IndexBoundsCheckILm4ElEESB_Lm4ESC_lEENS6_INS7_ISA_KSB_Lm3ESC_lEESG_SI_Lm4ESC_lEEiiii.kd
    .uniform_work_group_size: 1
    .uses_dynamic_stack: false
    .vgpr_count:     18
    .vgpr_spill_count: 0
    .wavefront_size: 32
  - .args:
      - .offset:         0
        .size:           72
        .value_kind:     by_value
      - .offset:         72
        .size:           72
        .value_kind:     by_value
      - .offset:         144
        .size:           4
        .value_kind:     by_value
      - .offset:         148
        .size:           4
        .value_kind:     by_value
      - .offset:         152
        .size:           4
        .value_kind:     by_value
      - .offset:         156
        .size:           4
        .value_kind:     by_value
      - .offset:         160
        .size:           4
        .value_kind:     hidden_block_count_x
      - .offset:         164
        .size:           4
        .value_kind:     hidden_block_count_y
      - .offset:         168
        .size:           4
        .value_kind:     hidden_block_count_z
      - .offset:         172
        .size:           2
        .value_kind:     hidden_group_size_x
      - .offset:         174
        .size:           2
        .value_kind:     hidden_group_size_y
      - .offset:         176
        .size:           2
        .value_kind:     hidden_group_size_z
      - .offset:         178
        .size:           2
        .value_kind:     hidden_remainder_x
      - .offset:         180
        .size:           2
        .value_kind:     hidden_remainder_y
      - .offset:         182
        .size:           2
        .value_kind:     hidden_remainder_z
      - .offset:         200
        .size:           8
        .value_kind:     hidden_global_offset_x
      - .offset:         208
        .size:           8
        .value_kind:     hidden_global_offset_y
      - .offset:         216
        .size:           8
        .value_kind:     hidden_global_offset_z
      - .offset:         224
        .size:           2
        .value_kind:     hidden_grid_dims
    .group_segment_fixed_size: 0
    .kernarg_segment_align: 8
    .kernarg_segment_size: 416
    .language:       OpenCL C
    .language_version:
      - 2
      - 0
    .max_flat_workgroup_size: 1024
    .name:           _ZN2at6native12_GLOBAL__N_131replication_pad_backward_kernelIfEEvN5torch10headeronly6detail27GenericPackedTensorAccessorINS5_14TensorAccessorIN3c108ArrayRefIlEET_Lm3ENS4_16DefaultPtrTraitsElEENS_6detail16IndexBoundsCheckILm4ElEESB_Lm4ESC_lEENS6_INS7_ISA_KSB_Lm3ESC_lEESG_SI_Lm4ESC_lEEiiii
    .private_segment_fixed_size: 0
    .sgpr_count:     24
    .sgpr_spill_count: 0
    .symbol:         _ZN2at6native12_GLOBAL__N_131replication_pad_backward_kernelIfEEvN5torch10headeronly6detail27GenericPackedTensorAccessorINS5_14TensorAccessorIN3c108ArrayRefIlEET_Lm3ENS4_16DefaultPtrTraitsElEENS_6detail16IndexBoundsCheckILm4ElEESB_Lm4ESC_lEENS6_INS7_ISA_KSB_Lm3ESC_lEESG_SI_Lm4ESC_lEEiiii.kd
    .uniform_work_group_size: 1
    .uses_dynamic_stack: false
    .vgpr_count:     18
    .vgpr_spill_count: 0
    .wavefront_size: 32
  - .args:
      - .offset:         0
        .size:           72
        .value_kind:     by_value
      - .offset:         72
        .size:           72
        .value_kind:     by_value
      - .offset:         144
        .size:           4
        .value_kind:     by_value
      - .offset:         148
        .size:           4
        .value_kind:     by_value
      - .offset:         152
        .size:           4
        .value_kind:     by_value
      - .offset:         156
        .size:           4
        .value_kind:     by_value
      - .offset:         160
        .size:           4
        .value_kind:     hidden_block_count_x
      - .offset:         164
        .size:           4
        .value_kind:     hidden_block_count_y
      - .offset:         168
        .size:           4
        .value_kind:     hidden_block_count_z
      - .offset:         172
        .size:           2
        .value_kind:     hidden_group_size_x
      - .offset:         174
        .size:           2
        .value_kind:     hidden_group_size_y
      - .offset:         176
        .size:           2
        .value_kind:     hidden_group_size_z
      - .offset:         178
        .size:           2
        .value_kind:     hidden_remainder_x
      - .offset:         180
        .size:           2
        .value_kind:     hidden_remainder_y
      - .offset:         182
        .size:           2
        .value_kind:     hidden_remainder_z
      - .offset:         200
        .size:           8
        .value_kind:     hidden_global_offset_x
      - .offset:         208
        .size:           8
        .value_kind:     hidden_global_offset_y
      - .offset:         216
        .size:           8
        .value_kind:     hidden_global_offset_z
      - .offset:         224
        .size:           2
        .value_kind:     hidden_grid_dims
    .group_segment_fixed_size: 0
    .kernarg_segment_align: 8
    .kernarg_segment_size: 416
    .language:       OpenCL C
    .language_version:
      - 2
      - 0
    .max_flat_workgroup_size: 1024
    .name:           _ZN2at6native12_GLOBAL__N_131replication_pad_backward_kernelIN3c107complexIdEEEEvN5torch10headeronly6detail27GenericPackedTensorAccessorINS8_14TensorAccessorINS3_8ArrayRefIlEET_Lm3ENS7_16DefaultPtrTraitsElEENS_6detail16IndexBoundsCheckILm4ElEESD_Lm4ESE_lEENS9_INSA_ISC_KSD_Lm3ESE_lEESI_SK_Lm4ESE_lEEiiii
    .private_segment_fixed_size: 0
    .sgpr_count:     24
    .sgpr_spill_count: 0
    .symbol:         _ZN2at6native12_GLOBAL__N_131replication_pad_backward_kernelIN3c107complexIdEEEEvN5torch10headeronly6detail27GenericPackedTensorAccessorINS8_14TensorAccessorINS3_8ArrayRefIlEET_Lm3ENS7_16DefaultPtrTraitsElEENS_6detail16IndexBoundsCheckILm4ElEESD_Lm4ESE_lEENS9_INSA_ISC_KSD_Lm3ESE_lEESI_SK_Lm4ESE_lEEiiii.kd
    .uniform_work_group_size: 1
    .uses_dynamic_stack: false
    .vgpr_count:     18
    .vgpr_spill_count: 0
    .wavefront_size: 32
  - .args:
      - .offset:         0
        .size:           72
        .value_kind:     by_value
      - .offset:         72
        .size:           72
        .value_kind:     by_value
      - .offset:         144
        .size:           4
        .value_kind:     by_value
      - .offset:         148
        .size:           4
        .value_kind:     by_value
      - .offset:         152
        .size:           4
        .value_kind:     by_value
      - .offset:         156
        .size:           4
        .value_kind:     by_value
      - .offset:         160
        .size:           4
        .value_kind:     hidden_block_count_x
      - .offset:         164
        .size:           4
        .value_kind:     hidden_block_count_y
      - .offset:         168
        .size:           4
        .value_kind:     hidden_block_count_z
      - .offset:         172
        .size:           2
        .value_kind:     hidden_group_size_x
      - .offset:         174
        .size:           2
        .value_kind:     hidden_group_size_y
      - .offset:         176
        .size:           2
        .value_kind:     hidden_group_size_z
      - .offset:         178
        .size:           2
        .value_kind:     hidden_remainder_x
      - .offset:         180
        .size:           2
        .value_kind:     hidden_remainder_y
      - .offset:         182
        .size:           2
        .value_kind:     hidden_remainder_z
      - .offset:         200
        .size:           8
        .value_kind:     hidden_global_offset_x
      - .offset:         208
        .size:           8
        .value_kind:     hidden_global_offset_y
      - .offset:         216
        .size:           8
        .value_kind:     hidden_global_offset_z
      - .offset:         224
        .size:           2
        .value_kind:     hidden_grid_dims
    .group_segment_fixed_size: 0
    .kernarg_segment_align: 8
    .kernarg_segment_size: 416
    .language:       OpenCL C
    .language_version:
      - 2
      - 0
    .max_flat_workgroup_size: 1024
    .name:           _ZN2at6native12_GLOBAL__N_131replication_pad_backward_kernelIN3c107complexIfEEEEvN5torch10headeronly6detail27GenericPackedTensorAccessorINS8_14TensorAccessorINS3_8ArrayRefIlEET_Lm3ENS7_16DefaultPtrTraitsElEENS_6detail16IndexBoundsCheckILm4ElEESD_Lm4ESE_lEENS9_INSA_ISC_KSD_Lm3ESE_lEESI_SK_Lm4ESE_lEEiiii
    .private_segment_fixed_size: 0
    .sgpr_count:     24
    .sgpr_spill_count: 0
    .symbol:         _ZN2at6native12_GLOBAL__N_131replication_pad_backward_kernelIN3c107complexIfEEEEvN5torch10headeronly6detail27GenericPackedTensorAccessorINS8_14TensorAccessorINS3_8ArrayRefIlEET_Lm3ENS7_16DefaultPtrTraitsElEENS_6detail16IndexBoundsCheckILm4ElEESD_Lm4ESE_lEENS9_INSA_ISC_KSD_Lm3ESE_lEESI_SK_Lm4ESE_lEEiiii.kd
    .uniform_work_group_size: 1
    .uses_dynamic_stack: false
    .vgpr_count:     18
    .vgpr_spill_count: 0
    .wavefront_size: 32
  - .args:
      - .offset:         0
        .size:           72
        .value_kind:     by_value
      - .offset:         72
        .size:           72
        .value_kind:     by_value
      - .offset:         144
        .size:           4
        .value_kind:     by_value
      - .offset:         148
        .size:           4
        .value_kind:     by_value
      - .offset:         152
        .size:           4
        .value_kind:     by_value
      - .offset:         156
        .size:           4
        .value_kind:     by_value
      - .offset:         160
        .size:           4
        .value_kind:     hidden_block_count_x
      - .offset:         164
        .size:           4
        .value_kind:     hidden_block_count_y
      - .offset:         168
        .size:           4
        .value_kind:     hidden_block_count_z
      - .offset:         172
        .size:           2
        .value_kind:     hidden_group_size_x
      - .offset:         174
        .size:           2
        .value_kind:     hidden_group_size_y
      - .offset:         176
        .size:           2
        .value_kind:     hidden_group_size_z
      - .offset:         178
        .size:           2
        .value_kind:     hidden_remainder_x
      - .offset:         180
        .size:           2
        .value_kind:     hidden_remainder_y
      - .offset:         182
        .size:           2
        .value_kind:     hidden_remainder_z
      - .offset:         200
        .size:           8
        .value_kind:     hidden_global_offset_x
      - .offset:         208
        .size:           8
        .value_kind:     hidden_global_offset_y
      - .offset:         216
        .size:           8
        .value_kind:     hidden_global_offset_z
      - .offset:         224
        .size:           2
        .value_kind:     hidden_grid_dims
    .group_segment_fixed_size: 0
    .kernarg_segment_align: 8
    .kernarg_segment_size: 416
    .language:       OpenCL C
    .language_version:
      - 2
      - 0
    .max_flat_workgroup_size: 1024
    .name:           _ZN2at6native12_GLOBAL__N_131replication_pad_backward_kernelIN3c104HalfEEEvN5torch10headeronly6detail27GenericPackedTensorAccessorINS7_14TensorAccessorINS3_8ArrayRefIlEET_Lm3ENS6_16DefaultPtrTraitsElEENS_6detail16IndexBoundsCheckILm4ElEESC_Lm4ESD_lEENS8_INS9_ISB_KSC_Lm3ESD_lEESH_SJ_Lm4ESD_lEEiiii
    .private_segment_fixed_size: 0
    .sgpr_count:     30
    .sgpr_spill_count: 0
    .symbol:         _ZN2at6native12_GLOBAL__N_131replication_pad_backward_kernelIN3c104HalfEEEvN5torch10headeronly6detail27GenericPackedTensorAccessorINS7_14TensorAccessorINS3_8ArrayRefIlEET_Lm3ENS6_16DefaultPtrTraitsElEENS_6detail16IndexBoundsCheckILm4ElEESC_Lm4ESD_lEENS8_INS9_ISB_KSC_Lm3ESD_lEESH_SJ_Lm4ESD_lEEiiii.kd
    .uniform_work_group_size: 1
    .uses_dynamic_stack: false
    .vgpr_count:     18
    .vgpr_spill_count: 0
    .wavefront_size: 32
  - .args:
      - .offset:         0
        .size:           72
        .value_kind:     by_value
      - .offset:         72
        .size:           72
        .value_kind:     by_value
      - .offset:         144
        .size:           4
        .value_kind:     by_value
      - .offset:         148
        .size:           4
        .value_kind:     by_value
      - .offset:         152
        .size:           4
        .value_kind:     by_value
      - .offset:         156
        .size:           4
        .value_kind:     by_value
      - .offset:         160
        .size:           4
        .value_kind:     hidden_block_count_x
      - .offset:         164
        .size:           4
        .value_kind:     hidden_block_count_y
      - .offset:         168
        .size:           4
        .value_kind:     hidden_block_count_z
      - .offset:         172
        .size:           2
        .value_kind:     hidden_group_size_x
      - .offset:         174
        .size:           2
        .value_kind:     hidden_group_size_y
      - .offset:         176
        .size:           2
        .value_kind:     hidden_group_size_z
      - .offset:         178
        .size:           2
        .value_kind:     hidden_remainder_x
      - .offset:         180
        .size:           2
        .value_kind:     hidden_remainder_y
      - .offset:         182
        .size:           2
        .value_kind:     hidden_remainder_z
      - .offset:         200
        .size:           8
        .value_kind:     hidden_global_offset_x
      - .offset:         208
        .size:           8
        .value_kind:     hidden_global_offset_y
      - .offset:         216
        .size:           8
        .value_kind:     hidden_global_offset_z
      - .offset:         224
        .size:           2
        .value_kind:     hidden_grid_dims
    .group_segment_fixed_size: 0
    .kernarg_segment_align: 8
    .kernarg_segment_size: 416
    .language:       OpenCL C
    .language_version:
      - 2
      - 0
    .max_flat_workgroup_size: 1024
    .name:           _ZN2at6native12_GLOBAL__N_131replication_pad_backward_kernelIN3c108BFloat16EEEvN5torch10headeronly6detail27GenericPackedTensorAccessorINS7_14TensorAccessorINS3_8ArrayRefIlEET_Lm3ENS6_16DefaultPtrTraitsElEENS_6detail16IndexBoundsCheckILm4ElEESC_Lm4ESD_lEENS8_INS9_ISB_KSC_Lm3ESD_lEESH_SJ_Lm4ESD_lEEiiii
    .private_segment_fixed_size: 0
    .sgpr_count:     31
    .sgpr_spill_count: 0
    .symbol:         _ZN2at6native12_GLOBAL__N_131replication_pad_backward_kernelIN3c108BFloat16EEEvN5torch10headeronly6detail27GenericPackedTensorAccessorINS7_14TensorAccessorINS3_8ArrayRefIlEET_Lm3ENS6_16DefaultPtrTraitsElEENS_6detail16IndexBoundsCheckILm4ElEESC_Lm4ESD_lEENS8_INS9_ISB_KSC_Lm3ESD_lEESH_SJ_Lm4ESD_lEEiiii.kd
    .uniform_work_group_size: 1
    .uses_dynamic_stack: false
    .vgpr_count:     18
    .vgpr_spill_count: 0
    .wavefront_size: 32
  - .args:
      - .offset:         0
        .size:           88
        .value_kind:     by_value
      - .offset:         88
        .size:           88
        .value_kind:     by_value
      - .offset:         176
        .size:           4
        .value_kind:     by_value
      - .offset:         180
        .size:           4
        .value_kind:     by_value
      - .offset:         184
        .size:           4
        .value_kind:     by_value
      - .offset:         188
        .size:           4
        .value_kind:     by_value
      - .offset:         192
        .size:           4
        .value_kind:     by_value
      - .offset:         200
        .size:           4
        .value_kind:     hidden_block_count_x
      - .offset:         204
        .size:           4
        .value_kind:     hidden_block_count_y
      - .offset:         208
        .size:           4
        .value_kind:     hidden_block_count_z
      - .offset:         212
        .size:           2
        .value_kind:     hidden_group_size_x
      - .offset:         214
        .size:           2
        .value_kind:     hidden_group_size_y
      - .offset:         216
        .size:           2
        .value_kind:     hidden_group_size_z
      - .offset:         218
        .size:           2
        .value_kind:     hidden_remainder_x
      - .offset:         220
        .size:           2
        .value_kind:     hidden_remainder_y
      - .offset:         222
        .size:           2
        .value_kind:     hidden_remainder_z
      - .offset:         240
        .size:           8
        .value_kind:     hidden_global_offset_x
      - .offset:         248
        .size:           8
        .value_kind:     hidden_global_offset_y
      - .offset:         256
        .size:           8
        .value_kind:     hidden_global_offset_z
      - .offset:         264
        .size:           2
        .value_kind:     hidden_grid_dims
    .group_segment_fixed_size: 0
    .kernarg_segment_align: 8
    .kernarg_segment_size: 456
    .language:       OpenCL C
    .language_version:
      - 2
      - 0
    .max_flat_workgroup_size: 1024
    .name:           _ZN2at6native12_GLOBAL__N_131replication_pad_backward_kernelIdEEvN5torch10headeronly6detail27GenericPackedTensorAccessorINS5_14TensorAccessorIN3c108ArrayRefIlEET_Lm4ENS4_16DefaultPtrTraitsElEENS_6detail16IndexBoundsCheckILm5ElEESB_Lm5ESC_lEENS6_INS7_ISA_KSB_Lm4ESC_lEESG_SI_Lm5ESC_lEEiiiii
    .private_segment_fixed_size: 0
    .sgpr_count:     30
    .sgpr_spill_count: 0
    .symbol:         _ZN2at6native12_GLOBAL__N_131replication_pad_backward_kernelIdEEvN5torch10headeronly6detail27GenericPackedTensorAccessorINS5_14TensorAccessorIN3c108ArrayRefIlEET_Lm4ENS4_16DefaultPtrTraitsElEENS_6detail16IndexBoundsCheckILm5ElEESB_Lm5ESC_lEENS6_INS7_ISA_KSB_Lm4ESC_lEESG_SI_Lm5ESC_lEEiiiii.kd
    .uniform_work_group_size: 1
    .uses_dynamic_stack: false
    .vgpr_count:     22
    .vgpr_spill_count: 0
    .wavefront_size: 32
  - .args:
      - .offset:         0
        .size:           88
        .value_kind:     by_value
      - .offset:         88
        .size:           88
        .value_kind:     by_value
      - .offset:         176
        .size:           4
        .value_kind:     by_value
      - .offset:         180
        .size:           4
        .value_kind:     by_value
      - .offset:         184
        .size:           4
        .value_kind:     by_value
      - .offset:         188
        .size:           4
        .value_kind:     by_value
      - .offset:         192
        .size:           4
        .value_kind:     by_value
      - .offset:         200
        .size:           4
        .value_kind:     hidden_block_count_x
      - .offset:         204
        .size:           4
        .value_kind:     hidden_block_count_y
      - .offset:         208
        .size:           4
        .value_kind:     hidden_block_count_z
      - .offset:         212
        .size:           2
        .value_kind:     hidden_group_size_x
      - .offset:         214
        .size:           2
        .value_kind:     hidden_group_size_y
      - .offset:         216
        .size:           2
        .value_kind:     hidden_group_size_z
      - .offset:         218
        .size:           2
        .value_kind:     hidden_remainder_x
      - .offset:         220
        .size:           2
        .value_kind:     hidden_remainder_y
      - .offset:         222
        .size:           2
        .value_kind:     hidden_remainder_z
      - .offset:         240
        .size:           8
        .value_kind:     hidden_global_offset_x
      - .offset:         248
        .size:           8
        .value_kind:     hidden_global_offset_y
      - .offset:         256
        .size:           8
        .value_kind:     hidden_global_offset_z
      - .offset:         264
        .size:           2
        .value_kind:     hidden_grid_dims
    .group_segment_fixed_size: 0
    .kernarg_segment_align: 8
    .kernarg_segment_size: 456
    .language:       OpenCL C
    .language_version:
      - 2
      - 0
    .max_flat_workgroup_size: 1024
    .name:           _ZN2at6native12_GLOBAL__N_131replication_pad_backward_kernelIfEEvN5torch10headeronly6detail27GenericPackedTensorAccessorINS5_14TensorAccessorIN3c108ArrayRefIlEET_Lm4ENS4_16DefaultPtrTraitsElEENS_6detail16IndexBoundsCheckILm5ElEESB_Lm5ESC_lEENS6_INS7_ISA_KSB_Lm4ESC_lEESG_SI_Lm5ESC_lEEiiiii
    .private_segment_fixed_size: 0
    .sgpr_count:     30
    .sgpr_spill_count: 0
    .symbol:         _ZN2at6native12_GLOBAL__N_131replication_pad_backward_kernelIfEEvN5torch10headeronly6detail27GenericPackedTensorAccessorINS5_14TensorAccessorIN3c108ArrayRefIlEET_Lm4ENS4_16DefaultPtrTraitsElEENS_6detail16IndexBoundsCheckILm5ElEESB_Lm5ESC_lEENS6_INS7_ISA_KSB_Lm4ESC_lEESG_SI_Lm5ESC_lEEiiiii.kd
    .uniform_work_group_size: 1
    .uses_dynamic_stack: false
    .vgpr_count:     22
    .vgpr_spill_count: 0
    .wavefront_size: 32
  - .args:
      - .offset:         0
        .size:           88
        .value_kind:     by_value
      - .offset:         88
        .size:           88
        .value_kind:     by_value
      - .offset:         176
        .size:           4
        .value_kind:     by_value
      - .offset:         180
        .size:           4
        .value_kind:     by_value
      - .offset:         184
        .size:           4
        .value_kind:     by_value
      - .offset:         188
        .size:           4
        .value_kind:     by_value
      - .offset:         192
        .size:           4
        .value_kind:     by_value
      - .offset:         200
        .size:           4
        .value_kind:     hidden_block_count_x
      - .offset:         204
        .size:           4
        .value_kind:     hidden_block_count_y
      - .offset:         208
        .size:           4
        .value_kind:     hidden_block_count_z
      - .offset:         212
        .size:           2
        .value_kind:     hidden_group_size_x
      - .offset:         214
        .size:           2
        .value_kind:     hidden_group_size_y
      - .offset:         216
        .size:           2
        .value_kind:     hidden_group_size_z
      - .offset:         218
        .size:           2
        .value_kind:     hidden_remainder_x
      - .offset:         220
        .size:           2
        .value_kind:     hidden_remainder_y
      - .offset:         222
        .size:           2
        .value_kind:     hidden_remainder_z
      - .offset:         240
        .size:           8
        .value_kind:     hidden_global_offset_x
      - .offset:         248
        .size:           8
        .value_kind:     hidden_global_offset_y
      - .offset:         256
        .size:           8
        .value_kind:     hidden_global_offset_z
      - .offset:         264
        .size:           2
        .value_kind:     hidden_grid_dims
    .group_segment_fixed_size: 0
    .kernarg_segment_align: 8
    .kernarg_segment_size: 456
    .language:       OpenCL C
    .language_version:
      - 2
      - 0
    .max_flat_workgroup_size: 1024
    .name:           _ZN2at6native12_GLOBAL__N_131replication_pad_backward_kernelIN3c107complexIdEEEEvN5torch10headeronly6detail27GenericPackedTensorAccessorINS8_14TensorAccessorINS3_8ArrayRefIlEET_Lm4ENS7_16DefaultPtrTraitsElEENS_6detail16IndexBoundsCheckILm5ElEESD_Lm5ESE_lEENS9_INSA_ISC_KSD_Lm4ESE_lEESI_SK_Lm5ESE_lEEiiiii
    .private_segment_fixed_size: 0
    .sgpr_count:     30
    .sgpr_spill_count: 0
    .symbol:         _ZN2at6native12_GLOBAL__N_131replication_pad_backward_kernelIN3c107complexIdEEEEvN5torch10headeronly6detail27GenericPackedTensorAccessorINS8_14TensorAccessorINS3_8ArrayRefIlEET_Lm4ENS7_16DefaultPtrTraitsElEENS_6detail16IndexBoundsCheckILm5ElEESD_Lm5ESE_lEENS9_INSA_ISC_KSD_Lm4ESE_lEESI_SK_Lm5ESE_lEEiiiii.kd
    .uniform_work_group_size: 1
    .uses_dynamic_stack: false
    .vgpr_count:     22
    .vgpr_spill_count: 0
    .wavefront_size: 32
  - .args:
      - .offset:         0
        .size:           88
        .value_kind:     by_value
      - .offset:         88
        .size:           88
        .value_kind:     by_value
      - .offset:         176
        .size:           4
        .value_kind:     by_value
      - .offset:         180
        .size:           4
        .value_kind:     by_value
      - .offset:         184
        .size:           4
        .value_kind:     by_value
      - .offset:         188
        .size:           4
        .value_kind:     by_value
      - .offset:         192
        .size:           4
        .value_kind:     by_value
      - .offset:         200
        .size:           4
        .value_kind:     hidden_block_count_x
      - .offset:         204
        .size:           4
        .value_kind:     hidden_block_count_y
      - .offset:         208
        .size:           4
        .value_kind:     hidden_block_count_z
      - .offset:         212
        .size:           2
        .value_kind:     hidden_group_size_x
      - .offset:         214
        .size:           2
        .value_kind:     hidden_group_size_y
      - .offset:         216
        .size:           2
        .value_kind:     hidden_group_size_z
      - .offset:         218
        .size:           2
        .value_kind:     hidden_remainder_x
      - .offset:         220
        .size:           2
        .value_kind:     hidden_remainder_y
      - .offset:         222
        .size:           2
        .value_kind:     hidden_remainder_z
      - .offset:         240
        .size:           8
        .value_kind:     hidden_global_offset_x
      - .offset:         248
        .size:           8
        .value_kind:     hidden_global_offset_y
      - .offset:         256
        .size:           8
        .value_kind:     hidden_global_offset_z
      - .offset:         264
        .size:           2
        .value_kind:     hidden_grid_dims
    .group_segment_fixed_size: 0
    .kernarg_segment_align: 8
    .kernarg_segment_size: 456
    .language:       OpenCL C
    .language_version:
      - 2
      - 0
    .max_flat_workgroup_size: 1024
    .name:           _ZN2at6native12_GLOBAL__N_131replication_pad_backward_kernelIN3c107complexIfEEEEvN5torch10headeronly6detail27GenericPackedTensorAccessorINS8_14TensorAccessorINS3_8ArrayRefIlEET_Lm4ENS7_16DefaultPtrTraitsElEENS_6detail16IndexBoundsCheckILm5ElEESD_Lm5ESE_lEENS9_INSA_ISC_KSD_Lm4ESE_lEESI_SK_Lm5ESE_lEEiiiii
    .private_segment_fixed_size: 0
    .sgpr_count:     30
    .sgpr_spill_count: 0
    .symbol:         _ZN2at6native12_GLOBAL__N_131replication_pad_backward_kernelIN3c107complexIfEEEEvN5torch10headeronly6detail27GenericPackedTensorAccessorINS8_14TensorAccessorINS3_8ArrayRefIlEET_Lm4ENS7_16DefaultPtrTraitsElEENS_6detail16IndexBoundsCheckILm5ElEESD_Lm5ESE_lEENS9_INSA_ISC_KSD_Lm4ESE_lEESI_SK_Lm5ESE_lEEiiiii.kd
    .uniform_work_group_size: 1
    .uses_dynamic_stack: false
    .vgpr_count:     22
    .vgpr_spill_count: 0
    .wavefront_size: 32
  - .args:
      - .offset:         0
        .size:           88
        .value_kind:     by_value
      - .offset:         88
        .size:           88
        .value_kind:     by_value
      - .offset:         176
        .size:           4
        .value_kind:     by_value
      - .offset:         180
        .size:           4
        .value_kind:     by_value
      - .offset:         184
        .size:           4
        .value_kind:     by_value
      - .offset:         188
        .size:           4
        .value_kind:     by_value
      - .offset:         192
        .size:           4
        .value_kind:     by_value
      - .offset:         200
        .size:           4
        .value_kind:     hidden_block_count_x
      - .offset:         204
        .size:           4
        .value_kind:     hidden_block_count_y
      - .offset:         208
        .size:           4
        .value_kind:     hidden_block_count_z
      - .offset:         212
        .size:           2
        .value_kind:     hidden_group_size_x
      - .offset:         214
        .size:           2
        .value_kind:     hidden_group_size_y
      - .offset:         216
        .size:           2
        .value_kind:     hidden_group_size_z
      - .offset:         218
        .size:           2
        .value_kind:     hidden_remainder_x
      - .offset:         220
        .size:           2
        .value_kind:     hidden_remainder_y
      - .offset:         222
        .size:           2
        .value_kind:     hidden_remainder_z
      - .offset:         240
        .size:           8
        .value_kind:     hidden_global_offset_x
      - .offset:         248
        .size:           8
        .value_kind:     hidden_global_offset_y
      - .offset:         256
        .size:           8
        .value_kind:     hidden_global_offset_z
      - .offset:         264
        .size:           2
        .value_kind:     hidden_grid_dims
    .group_segment_fixed_size: 0
    .kernarg_segment_align: 8
    .kernarg_segment_size: 456
    .language:       OpenCL C
    .language_version:
      - 2
      - 0
    .max_flat_workgroup_size: 1024
    .name:           _ZN2at6native12_GLOBAL__N_131replication_pad_backward_kernelIN3c104HalfEEEvN5torch10headeronly6detail27GenericPackedTensorAccessorINS7_14TensorAccessorINS3_8ArrayRefIlEET_Lm4ENS6_16DefaultPtrTraitsElEENS_6detail16IndexBoundsCheckILm5ElEESC_Lm5ESD_lEENS8_INS9_ISB_KSC_Lm4ESD_lEESH_SJ_Lm5ESD_lEEiiiii
    .private_segment_fixed_size: 0
    .sgpr_count:     34
    .sgpr_spill_count: 0
    .symbol:         _ZN2at6native12_GLOBAL__N_131replication_pad_backward_kernelIN3c104HalfEEEvN5torch10headeronly6detail27GenericPackedTensorAccessorINS7_14TensorAccessorINS3_8ArrayRefIlEET_Lm4ENS6_16DefaultPtrTraitsElEENS_6detail16IndexBoundsCheckILm5ElEESC_Lm5ESD_lEENS8_INS9_ISB_KSC_Lm4ESD_lEESH_SJ_Lm5ESD_lEEiiiii.kd
    .uniform_work_group_size: 1
    .uses_dynamic_stack: false
    .vgpr_count:     22
    .vgpr_spill_count: 0
    .wavefront_size: 32
  - .args:
      - .offset:         0
        .size:           88
        .value_kind:     by_value
      - .offset:         88
        .size:           88
        .value_kind:     by_value
      - .offset:         176
        .size:           4
        .value_kind:     by_value
      - .offset:         180
        .size:           4
        .value_kind:     by_value
      - .offset:         184
        .size:           4
        .value_kind:     by_value
      - .offset:         188
        .size:           4
        .value_kind:     by_value
      - .offset:         192
        .size:           4
        .value_kind:     by_value
      - .offset:         200
        .size:           4
        .value_kind:     hidden_block_count_x
      - .offset:         204
        .size:           4
        .value_kind:     hidden_block_count_y
      - .offset:         208
        .size:           4
        .value_kind:     hidden_block_count_z
      - .offset:         212
        .size:           2
        .value_kind:     hidden_group_size_x
      - .offset:         214
        .size:           2
        .value_kind:     hidden_group_size_y
      - .offset:         216
        .size:           2
        .value_kind:     hidden_group_size_z
      - .offset:         218
        .size:           2
        .value_kind:     hidden_remainder_x
      - .offset:         220
        .size:           2
        .value_kind:     hidden_remainder_y
      - .offset:         222
        .size:           2
        .value_kind:     hidden_remainder_z
      - .offset:         240
        .size:           8
        .value_kind:     hidden_global_offset_x
      - .offset:         248
        .size:           8
        .value_kind:     hidden_global_offset_y
      - .offset:         256
        .size:           8
        .value_kind:     hidden_global_offset_z
      - .offset:         264
        .size:           2
        .value_kind:     hidden_grid_dims
    .group_segment_fixed_size: 0
    .kernarg_segment_align: 8
    .kernarg_segment_size: 456
    .language:       OpenCL C
    .language_version:
      - 2
      - 0
    .max_flat_workgroup_size: 1024
    .name:           _ZN2at6native12_GLOBAL__N_131replication_pad_backward_kernelIN3c108BFloat16EEEvN5torch10headeronly6detail27GenericPackedTensorAccessorINS7_14TensorAccessorINS3_8ArrayRefIlEET_Lm4ENS6_16DefaultPtrTraitsElEENS_6detail16IndexBoundsCheckILm5ElEESC_Lm5ESD_lEENS8_INS9_ISB_KSC_Lm4ESD_lEESH_SJ_Lm5ESD_lEEiiiii
    .private_segment_fixed_size: 0
    .sgpr_count:     36
    .sgpr_spill_count: 0
    .symbol:         _ZN2at6native12_GLOBAL__N_131replication_pad_backward_kernelIN3c108BFloat16EEEvN5torch10headeronly6detail27GenericPackedTensorAccessorINS7_14TensorAccessorINS3_8ArrayRefIlEET_Lm4ENS6_16DefaultPtrTraitsElEENS_6detail16IndexBoundsCheckILm5ElEESC_Lm5ESD_lEENS8_INS9_ISB_KSC_Lm4ESD_lEESH_SJ_Lm5ESD_lEEiiiii.kd
    .uniform_work_group_size: 1
    .uses_dynamic_stack: false
    .vgpr_count:     22
    .vgpr_spill_count: 0
    .wavefront_size: 32
  - .args:
      - .offset:         0
        .size:           56
        .value_kind:     by_value
      - .offset:         56
        .size:           56
        .value_kind:     by_value
      - .offset:         112
        .size:           4
        .value_kind:     by_value
      - .offset:         116
        .size:           4
        .value_kind:     by_value
      - .offset:         120
        .size:           4
        .value_kind:     by_value
      - .offset:         128
        .size:           4
        .value_kind:     hidden_block_count_x
      - .offset:         132
        .size:           4
        .value_kind:     hidden_block_count_y
      - .offset:         136
        .size:           4
        .value_kind:     hidden_block_count_z
      - .offset:         140
        .size:           2
        .value_kind:     hidden_group_size_x
      - .offset:         142
        .size:           2
        .value_kind:     hidden_group_size_y
      - .offset:         144
        .size:           2
        .value_kind:     hidden_group_size_z
      - .offset:         146
        .size:           2
        .value_kind:     hidden_remainder_x
      - .offset:         148
        .size:           2
        .value_kind:     hidden_remainder_y
      - .offset:         150
        .size:           2
        .value_kind:     hidden_remainder_z
      - .offset:         168
        .size:           8
        .value_kind:     hidden_global_offset_x
      - .offset:         176
        .size:           8
        .value_kind:     hidden_global_offset_y
      - .offset:         184
        .size:           8
        .value_kind:     hidden_global_offset_z
      - .offset:         192
        .size:           2
        .value_kind:     hidden_grid_dims
    .group_segment_fixed_size: 0
    .kernarg_segment_align: 8
    .kernarg_segment_size: 384
    .language:       OpenCL C
    .language_version:
      - 2
      - 0
    .max_flat_workgroup_size: 1024
    .name:           _ZN2at6native12_GLOBAL__N_132replication_pad_forward_kernel1dIhEEvN5torch10headeronly6detail27GenericPackedTensorAccessorINS5_14TensorAccessorIN3c108ArrayRefIlEEKT_Lm2ENS4_16DefaultPtrTraitsElEENS_6detail16IndexBoundsCheckILm3ElEESC_Lm3ESD_lEENS6_INS7_ISA_SB_Lm2ESD_lEESH_SB_Lm3ESD_lEEiii
    .private_segment_fixed_size: 0
    .sgpr_count:     24
    .sgpr_spill_count: 0
    .symbol:         _ZN2at6native12_GLOBAL__N_132replication_pad_forward_kernel1dIhEEvN5torch10headeronly6detail27GenericPackedTensorAccessorINS5_14TensorAccessorIN3c108ArrayRefIlEEKT_Lm2ENS4_16DefaultPtrTraitsElEENS_6detail16IndexBoundsCheckILm3ElEESC_Lm3ESD_lEENS6_INS7_ISA_SB_Lm2ESD_lEESH_SB_Lm3ESD_lEEiii.kd
    .uniform_work_group_size: 1
    .uses_dynamic_stack: false
    .vgpr_count:     10
    .vgpr_spill_count: 0
    .wavefront_size: 32
  - .args:
      - .offset:         0
        .size:           56
        .value_kind:     by_value
      - .offset:         56
        .size:           56
        .value_kind:     by_value
      - .offset:         112
        .size:           4
        .value_kind:     by_value
      - .offset:         116
        .size:           4
        .value_kind:     by_value
      - .offset:         120
        .size:           4
        .value_kind:     by_value
      - .offset:         128
        .size:           4
        .value_kind:     hidden_block_count_x
      - .offset:         132
        .size:           4
        .value_kind:     hidden_block_count_y
      - .offset:         136
        .size:           4
        .value_kind:     hidden_block_count_z
      - .offset:         140
        .size:           2
        .value_kind:     hidden_group_size_x
      - .offset:         142
        .size:           2
        .value_kind:     hidden_group_size_y
      - .offset:         144
        .size:           2
        .value_kind:     hidden_group_size_z
      - .offset:         146
        .size:           2
        .value_kind:     hidden_remainder_x
      - .offset:         148
        .size:           2
        .value_kind:     hidden_remainder_y
      - .offset:         150
        .size:           2
        .value_kind:     hidden_remainder_z
      - .offset:         168
        .size:           8
        .value_kind:     hidden_global_offset_x
      - .offset:         176
        .size:           8
        .value_kind:     hidden_global_offset_y
      - .offset:         184
        .size:           8
        .value_kind:     hidden_global_offset_z
      - .offset:         192
        .size:           2
        .value_kind:     hidden_grid_dims
    .group_segment_fixed_size: 0
    .kernarg_segment_align: 8
    .kernarg_segment_size: 384
    .language:       OpenCL C
    .language_version:
      - 2
      - 0
    .max_flat_workgroup_size: 1024
    .name:           _ZN2at6native12_GLOBAL__N_132replication_pad_forward_kernel1dIaEEvN5torch10headeronly6detail27GenericPackedTensorAccessorINS5_14TensorAccessorIN3c108ArrayRefIlEEKT_Lm2ENS4_16DefaultPtrTraitsElEENS_6detail16IndexBoundsCheckILm3ElEESC_Lm3ESD_lEENS6_INS7_ISA_SB_Lm2ESD_lEESH_SB_Lm3ESD_lEEiii
    .private_segment_fixed_size: 0
    .sgpr_count:     24
    .sgpr_spill_count: 0
    .symbol:         _ZN2at6native12_GLOBAL__N_132replication_pad_forward_kernel1dIaEEvN5torch10headeronly6detail27GenericPackedTensorAccessorINS5_14TensorAccessorIN3c108ArrayRefIlEEKT_Lm2ENS4_16DefaultPtrTraitsElEENS_6detail16IndexBoundsCheckILm3ElEESC_Lm3ESD_lEENS6_INS7_ISA_SB_Lm2ESD_lEESH_SB_Lm3ESD_lEEiii.kd
    .uniform_work_group_size: 1
    .uses_dynamic_stack: false
    .vgpr_count:     10
    .vgpr_spill_count: 0
    .wavefront_size: 32
  - .args:
      - .offset:         0
        .size:           56
        .value_kind:     by_value
      - .offset:         56
        .size:           56
        .value_kind:     by_value
      - .offset:         112
        .size:           4
        .value_kind:     by_value
      - .offset:         116
        .size:           4
        .value_kind:     by_value
      - .offset:         120
        .size:           4
        .value_kind:     by_value
      - .offset:         128
        .size:           4
        .value_kind:     hidden_block_count_x
      - .offset:         132
        .size:           4
        .value_kind:     hidden_block_count_y
      - .offset:         136
        .size:           4
        .value_kind:     hidden_block_count_z
      - .offset:         140
        .size:           2
        .value_kind:     hidden_group_size_x
      - .offset:         142
        .size:           2
        .value_kind:     hidden_group_size_y
      - .offset:         144
        .size:           2
        .value_kind:     hidden_group_size_z
      - .offset:         146
        .size:           2
        .value_kind:     hidden_remainder_x
      - .offset:         148
        .size:           2
        .value_kind:     hidden_remainder_y
      - .offset:         150
        .size:           2
        .value_kind:     hidden_remainder_z
      - .offset:         168
        .size:           8
        .value_kind:     hidden_global_offset_x
      - .offset:         176
        .size:           8
        .value_kind:     hidden_global_offset_y
      - .offset:         184
        .size:           8
        .value_kind:     hidden_global_offset_z
      - .offset:         192
        .size:           2
        .value_kind:     hidden_grid_dims
    .group_segment_fixed_size: 0
    .kernarg_segment_align: 8
    .kernarg_segment_size: 384
    .language:       OpenCL C
    .language_version:
      - 2
      - 0
    .max_flat_workgroup_size: 1024
    .name:           _ZN2at6native12_GLOBAL__N_132replication_pad_forward_kernel1dIiEEvN5torch10headeronly6detail27GenericPackedTensorAccessorINS5_14TensorAccessorIN3c108ArrayRefIlEEKT_Lm2ENS4_16DefaultPtrTraitsElEENS_6detail16IndexBoundsCheckILm3ElEESC_Lm3ESD_lEENS6_INS7_ISA_SB_Lm2ESD_lEESH_SB_Lm3ESD_lEEiii
    .private_segment_fixed_size: 0
    .sgpr_count:     21
    .sgpr_spill_count: 0
    .symbol:         _ZN2at6native12_GLOBAL__N_132replication_pad_forward_kernel1dIiEEvN5torch10headeronly6detail27GenericPackedTensorAccessorINS5_14TensorAccessorIN3c108ArrayRefIlEEKT_Lm2ENS4_16DefaultPtrTraitsElEENS_6detail16IndexBoundsCheckILm3ElEESC_Lm3ESD_lEENS6_INS7_ISA_SB_Lm2ESD_lEESH_SB_Lm3ESD_lEEiii.kd
    .uniform_work_group_size: 1
    .uses_dynamic_stack: false
    .vgpr_count:     10
    .vgpr_spill_count: 0
    .wavefront_size: 32
  - .args:
      - .offset:         0
        .size:           56
        .value_kind:     by_value
      - .offset:         56
        .size:           56
        .value_kind:     by_value
      - .offset:         112
        .size:           4
        .value_kind:     by_value
      - .offset:         116
        .size:           4
        .value_kind:     by_value
      - .offset:         120
        .size:           4
        .value_kind:     by_value
      - .offset:         128
        .size:           4
        .value_kind:     hidden_block_count_x
      - .offset:         132
        .size:           4
        .value_kind:     hidden_block_count_y
      - .offset:         136
        .size:           4
        .value_kind:     hidden_block_count_z
      - .offset:         140
        .size:           2
        .value_kind:     hidden_group_size_x
      - .offset:         142
        .size:           2
        .value_kind:     hidden_group_size_y
      - .offset:         144
        .size:           2
        .value_kind:     hidden_group_size_z
      - .offset:         146
        .size:           2
        .value_kind:     hidden_remainder_x
      - .offset:         148
        .size:           2
        .value_kind:     hidden_remainder_y
      - .offset:         150
        .size:           2
        .value_kind:     hidden_remainder_z
      - .offset:         168
        .size:           8
        .value_kind:     hidden_global_offset_x
      - .offset:         176
        .size:           8
        .value_kind:     hidden_global_offset_y
      - .offset:         184
        .size:           8
        .value_kind:     hidden_global_offset_z
      - .offset:         192
        .size:           2
        .value_kind:     hidden_grid_dims
    .group_segment_fixed_size: 0
    .kernarg_segment_align: 8
    .kernarg_segment_size: 384
    .language:       OpenCL C
    .language_version:
      - 2
      - 0
    .max_flat_workgroup_size: 1024
    .name:           _ZN2at6native12_GLOBAL__N_132replication_pad_forward_kernel1dIlEEvN5torch10headeronly6detail27GenericPackedTensorAccessorINS5_14TensorAccessorIN3c108ArrayRefIlEEKT_Lm2ENS4_16DefaultPtrTraitsElEENS_6detail16IndexBoundsCheckILm3ElEESC_Lm3ESD_lEENS6_INS7_ISA_SB_Lm2ESD_lEESH_SB_Lm3ESD_lEEiii
    .private_segment_fixed_size: 0
    .sgpr_count:     21
    .sgpr_spill_count: 0
    .symbol:         _ZN2at6native12_GLOBAL__N_132replication_pad_forward_kernel1dIlEEvN5torch10headeronly6detail27GenericPackedTensorAccessorINS5_14TensorAccessorIN3c108ArrayRefIlEEKT_Lm2ENS4_16DefaultPtrTraitsElEENS_6detail16IndexBoundsCheckILm3ElEESC_Lm3ESD_lEENS6_INS7_ISA_SB_Lm2ESD_lEESH_SB_Lm3ESD_lEEiii.kd
    .uniform_work_group_size: 1
    .uses_dynamic_stack: false
    .vgpr_count:     10
    .vgpr_spill_count: 0
    .wavefront_size: 32
  - .args:
      - .offset:         0
        .size:           56
        .value_kind:     by_value
      - .offset:         56
        .size:           56
        .value_kind:     by_value
      - .offset:         112
        .size:           4
        .value_kind:     by_value
      - .offset:         116
        .size:           4
        .value_kind:     by_value
      - .offset:         120
        .size:           4
        .value_kind:     by_value
      - .offset:         128
        .size:           4
        .value_kind:     hidden_block_count_x
      - .offset:         132
        .size:           4
        .value_kind:     hidden_block_count_y
      - .offset:         136
        .size:           4
        .value_kind:     hidden_block_count_z
      - .offset:         140
        .size:           2
        .value_kind:     hidden_group_size_x
      - .offset:         142
        .size:           2
        .value_kind:     hidden_group_size_y
      - .offset:         144
        .size:           2
        .value_kind:     hidden_group_size_z
      - .offset:         146
        .size:           2
        .value_kind:     hidden_remainder_x
      - .offset:         148
        .size:           2
        .value_kind:     hidden_remainder_y
      - .offset:         150
        .size:           2
        .value_kind:     hidden_remainder_z
      - .offset:         168
        .size:           8
        .value_kind:     hidden_global_offset_x
      - .offset:         176
        .size:           8
        .value_kind:     hidden_global_offset_y
      - .offset:         184
        .size:           8
        .value_kind:     hidden_global_offset_z
      - .offset:         192
        .size:           2
        .value_kind:     hidden_grid_dims
    .group_segment_fixed_size: 0
    .kernarg_segment_align: 8
    .kernarg_segment_size: 384
    .language:       OpenCL C
    .language_version:
      - 2
      - 0
    .max_flat_workgroup_size: 1024
    .name:           _ZN2at6native12_GLOBAL__N_132replication_pad_forward_kernel1dIsEEvN5torch10headeronly6detail27GenericPackedTensorAccessorINS5_14TensorAccessorIN3c108ArrayRefIlEEKT_Lm2ENS4_16DefaultPtrTraitsElEENS_6detail16IndexBoundsCheckILm3ElEESC_Lm3ESD_lEENS6_INS7_ISA_SB_Lm2ESD_lEESH_SB_Lm3ESD_lEEiii
    .private_segment_fixed_size: 0
    .sgpr_count:     21
    .sgpr_spill_count: 0
    .symbol:         _ZN2at6native12_GLOBAL__N_132replication_pad_forward_kernel1dIsEEvN5torch10headeronly6detail27GenericPackedTensorAccessorINS5_14TensorAccessorIN3c108ArrayRefIlEEKT_Lm2ENS4_16DefaultPtrTraitsElEENS_6detail16IndexBoundsCheckILm3ElEESC_Lm3ESD_lEENS6_INS7_ISA_SB_Lm2ESD_lEESH_SB_Lm3ESD_lEEiii.kd
    .uniform_work_group_size: 1
    .uses_dynamic_stack: false
    .vgpr_count:     10
    .vgpr_spill_count: 0
    .wavefront_size: 32
  - .args:
      - .offset:         0
        .size:           56
        .value_kind:     by_value
      - .offset:         56
        .size:           56
        .value_kind:     by_value
      - .offset:         112
        .size:           4
        .value_kind:     by_value
      - .offset:         116
        .size:           4
        .value_kind:     by_value
      - .offset:         120
        .size:           4
        .value_kind:     by_value
      - .offset:         128
        .size:           4
        .value_kind:     hidden_block_count_x
      - .offset:         132
        .size:           4
        .value_kind:     hidden_block_count_y
      - .offset:         136
        .size:           4
        .value_kind:     hidden_block_count_z
      - .offset:         140
        .size:           2
        .value_kind:     hidden_group_size_x
      - .offset:         142
        .size:           2
        .value_kind:     hidden_group_size_y
      - .offset:         144
        .size:           2
        .value_kind:     hidden_group_size_z
      - .offset:         146
        .size:           2
        .value_kind:     hidden_remainder_x
      - .offset:         148
        .size:           2
        .value_kind:     hidden_remainder_y
      - .offset:         150
        .size:           2
        .value_kind:     hidden_remainder_z
      - .offset:         168
        .size:           8
        .value_kind:     hidden_global_offset_x
      - .offset:         176
        .size:           8
        .value_kind:     hidden_global_offset_y
      - .offset:         184
        .size:           8
        .value_kind:     hidden_global_offset_z
      - .offset:         192
        .size:           2
        .value_kind:     hidden_grid_dims
    .group_segment_fixed_size: 0
    .kernarg_segment_align: 8
    .kernarg_segment_size: 384
    .language:       OpenCL C
    .language_version:
      - 2
      - 0
    .max_flat_workgroup_size: 1024
    .name:           _ZN2at6native12_GLOBAL__N_132replication_pad_forward_kernel1dIdEEvN5torch10headeronly6detail27GenericPackedTensorAccessorINS5_14TensorAccessorIN3c108ArrayRefIlEEKT_Lm2ENS4_16DefaultPtrTraitsElEENS_6detail16IndexBoundsCheckILm3ElEESC_Lm3ESD_lEENS6_INS7_ISA_SB_Lm2ESD_lEESH_SB_Lm3ESD_lEEiii
    .private_segment_fixed_size: 0
    .sgpr_count:     21
    .sgpr_spill_count: 0
    .symbol:         _ZN2at6native12_GLOBAL__N_132replication_pad_forward_kernel1dIdEEvN5torch10headeronly6detail27GenericPackedTensorAccessorINS5_14TensorAccessorIN3c108ArrayRefIlEEKT_Lm2ENS4_16DefaultPtrTraitsElEENS_6detail16IndexBoundsCheckILm3ElEESC_Lm3ESD_lEENS6_INS7_ISA_SB_Lm2ESD_lEESH_SB_Lm3ESD_lEEiii.kd
    .uniform_work_group_size: 1
    .uses_dynamic_stack: false
    .vgpr_count:     10
    .vgpr_spill_count: 0
    .wavefront_size: 32
  - .args:
      - .offset:         0
        .size:           56
        .value_kind:     by_value
      - .offset:         56
        .size:           56
        .value_kind:     by_value
      - .offset:         112
        .size:           4
        .value_kind:     by_value
      - .offset:         116
        .size:           4
        .value_kind:     by_value
      - .offset:         120
        .size:           4
        .value_kind:     by_value
      - .offset:         128
        .size:           4
        .value_kind:     hidden_block_count_x
      - .offset:         132
        .size:           4
        .value_kind:     hidden_block_count_y
      - .offset:         136
        .size:           4
        .value_kind:     hidden_block_count_z
      - .offset:         140
        .size:           2
        .value_kind:     hidden_group_size_x
      - .offset:         142
        .size:           2
        .value_kind:     hidden_group_size_y
      - .offset:         144
        .size:           2
        .value_kind:     hidden_group_size_z
      - .offset:         146
        .size:           2
        .value_kind:     hidden_remainder_x
      - .offset:         148
        .size:           2
        .value_kind:     hidden_remainder_y
      - .offset:         150
        .size:           2
        .value_kind:     hidden_remainder_z
      - .offset:         168
        .size:           8
        .value_kind:     hidden_global_offset_x
      - .offset:         176
        .size:           8
        .value_kind:     hidden_global_offset_y
      - .offset:         184
        .size:           8
        .value_kind:     hidden_global_offset_z
      - .offset:         192
        .size:           2
        .value_kind:     hidden_grid_dims
    .group_segment_fixed_size: 0
    .kernarg_segment_align: 8
    .kernarg_segment_size: 384
    .language:       OpenCL C
    .language_version:
      - 2
      - 0
    .max_flat_workgroup_size: 1024
    .name:           _ZN2at6native12_GLOBAL__N_132replication_pad_forward_kernel1dIfEEvN5torch10headeronly6detail27GenericPackedTensorAccessorINS5_14TensorAccessorIN3c108ArrayRefIlEEKT_Lm2ENS4_16DefaultPtrTraitsElEENS_6detail16IndexBoundsCheckILm3ElEESC_Lm3ESD_lEENS6_INS7_ISA_SB_Lm2ESD_lEESH_SB_Lm3ESD_lEEiii
    .private_segment_fixed_size: 0
    .sgpr_count:     21
    .sgpr_spill_count: 0
    .symbol:         _ZN2at6native12_GLOBAL__N_132replication_pad_forward_kernel1dIfEEvN5torch10headeronly6detail27GenericPackedTensorAccessorINS5_14TensorAccessorIN3c108ArrayRefIlEEKT_Lm2ENS4_16DefaultPtrTraitsElEENS_6detail16IndexBoundsCheckILm3ElEESC_Lm3ESD_lEENS6_INS7_ISA_SB_Lm2ESD_lEESH_SB_Lm3ESD_lEEiii.kd
    .uniform_work_group_size: 1
    .uses_dynamic_stack: false
    .vgpr_count:     10
    .vgpr_spill_count: 0
    .wavefront_size: 32
  - .args:
      - .offset:         0
        .size:           56
        .value_kind:     by_value
      - .offset:         56
        .size:           56
        .value_kind:     by_value
      - .offset:         112
        .size:           4
        .value_kind:     by_value
      - .offset:         116
        .size:           4
        .value_kind:     by_value
      - .offset:         120
        .size:           4
        .value_kind:     by_value
      - .offset:         128
        .size:           4
        .value_kind:     hidden_block_count_x
      - .offset:         132
        .size:           4
        .value_kind:     hidden_block_count_y
      - .offset:         136
        .size:           4
        .value_kind:     hidden_block_count_z
      - .offset:         140
        .size:           2
        .value_kind:     hidden_group_size_x
      - .offset:         142
        .size:           2
        .value_kind:     hidden_group_size_y
      - .offset:         144
        .size:           2
        .value_kind:     hidden_group_size_z
      - .offset:         146
        .size:           2
        .value_kind:     hidden_remainder_x
      - .offset:         148
        .size:           2
        .value_kind:     hidden_remainder_y
      - .offset:         150
        .size:           2
        .value_kind:     hidden_remainder_z
      - .offset:         168
        .size:           8
        .value_kind:     hidden_global_offset_x
      - .offset:         176
        .size:           8
        .value_kind:     hidden_global_offset_y
      - .offset:         184
        .size:           8
        .value_kind:     hidden_global_offset_z
      - .offset:         192
        .size:           2
        .value_kind:     hidden_grid_dims
    .group_segment_fixed_size: 0
    .kernarg_segment_align: 8
    .kernarg_segment_size: 384
    .language:       OpenCL C
    .language_version:
      - 2
      - 0
    .max_flat_workgroup_size: 1024
    .name:           _ZN2at6native12_GLOBAL__N_132replication_pad_forward_kernel1dIN3c107complexIdEEEEvN5torch10headeronly6detail27GenericPackedTensorAccessorINS8_14TensorAccessorINS3_8ArrayRefIlEEKT_Lm2ENS7_16DefaultPtrTraitsElEENS_6detail16IndexBoundsCheckILm3ElEESE_Lm3ESF_lEENS9_INSA_ISC_SD_Lm2ESF_lEESJ_SD_Lm3ESF_lEEiii
    .private_segment_fixed_size: 0
    .sgpr_count:     21
    .sgpr_spill_count: 0
    .symbol:         _ZN2at6native12_GLOBAL__N_132replication_pad_forward_kernel1dIN3c107complexIdEEEEvN5torch10headeronly6detail27GenericPackedTensorAccessorINS8_14TensorAccessorINS3_8ArrayRefIlEEKT_Lm2ENS7_16DefaultPtrTraitsElEENS_6detail16IndexBoundsCheckILm3ElEESE_Lm3ESF_lEENS9_INSA_ISC_SD_Lm2ESF_lEESJ_SD_Lm3ESF_lEEiii.kd
    .uniform_work_group_size: 1
    .uses_dynamic_stack: false
    .vgpr_count:     10
    .vgpr_spill_count: 0
    .wavefront_size: 32
  - .args:
      - .offset:         0
        .size:           56
        .value_kind:     by_value
      - .offset:         56
        .size:           56
        .value_kind:     by_value
      - .offset:         112
        .size:           4
        .value_kind:     by_value
      - .offset:         116
        .size:           4
        .value_kind:     by_value
      - .offset:         120
        .size:           4
        .value_kind:     by_value
      - .offset:         128
        .size:           4
        .value_kind:     hidden_block_count_x
      - .offset:         132
        .size:           4
        .value_kind:     hidden_block_count_y
      - .offset:         136
        .size:           4
        .value_kind:     hidden_block_count_z
      - .offset:         140
        .size:           2
        .value_kind:     hidden_group_size_x
      - .offset:         142
        .size:           2
        .value_kind:     hidden_group_size_y
      - .offset:         144
        .size:           2
        .value_kind:     hidden_group_size_z
      - .offset:         146
        .size:           2
        .value_kind:     hidden_remainder_x
      - .offset:         148
        .size:           2
        .value_kind:     hidden_remainder_y
      - .offset:         150
        .size:           2
        .value_kind:     hidden_remainder_z
      - .offset:         168
        .size:           8
        .value_kind:     hidden_global_offset_x
      - .offset:         176
        .size:           8
        .value_kind:     hidden_global_offset_y
      - .offset:         184
        .size:           8
        .value_kind:     hidden_global_offset_z
      - .offset:         192
        .size:           2
        .value_kind:     hidden_grid_dims
    .group_segment_fixed_size: 0
    .kernarg_segment_align: 8
    .kernarg_segment_size: 384
    .language:       OpenCL C
    .language_version:
      - 2
      - 0
    .max_flat_workgroup_size: 1024
    .name:           _ZN2at6native12_GLOBAL__N_132replication_pad_forward_kernel1dIN3c107complexIfEEEEvN5torch10headeronly6detail27GenericPackedTensorAccessorINS8_14TensorAccessorINS3_8ArrayRefIlEEKT_Lm2ENS7_16DefaultPtrTraitsElEENS_6detail16IndexBoundsCheckILm3ElEESE_Lm3ESF_lEENS9_INSA_ISC_SD_Lm2ESF_lEESJ_SD_Lm3ESF_lEEiii
    .private_segment_fixed_size: 0
    .sgpr_count:     21
    .sgpr_spill_count: 0
    .symbol:         _ZN2at6native12_GLOBAL__N_132replication_pad_forward_kernel1dIN3c107complexIfEEEEvN5torch10headeronly6detail27GenericPackedTensorAccessorINS8_14TensorAccessorINS3_8ArrayRefIlEEKT_Lm2ENS7_16DefaultPtrTraitsElEENS_6detail16IndexBoundsCheckILm3ElEESE_Lm3ESF_lEENS9_INSA_ISC_SD_Lm2ESF_lEESJ_SD_Lm3ESF_lEEiii.kd
    .uniform_work_group_size: 1
    .uses_dynamic_stack: false
    .vgpr_count:     10
    .vgpr_spill_count: 0
    .wavefront_size: 32
  - .args:
      - .offset:         0
        .size:           56
        .value_kind:     by_value
      - .offset:         56
        .size:           56
        .value_kind:     by_value
      - .offset:         112
        .size:           4
        .value_kind:     by_value
      - .offset:         116
        .size:           4
        .value_kind:     by_value
      - .offset:         120
        .size:           4
        .value_kind:     by_value
      - .offset:         128
        .size:           4
        .value_kind:     hidden_block_count_x
      - .offset:         132
        .size:           4
        .value_kind:     hidden_block_count_y
      - .offset:         136
        .size:           4
        .value_kind:     hidden_block_count_z
      - .offset:         140
        .size:           2
        .value_kind:     hidden_group_size_x
      - .offset:         142
        .size:           2
        .value_kind:     hidden_group_size_y
      - .offset:         144
        .size:           2
        .value_kind:     hidden_group_size_z
      - .offset:         146
        .size:           2
        .value_kind:     hidden_remainder_x
      - .offset:         148
        .size:           2
        .value_kind:     hidden_remainder_y
      - .offset:         150
        .size:           2
        .value_kind:     hidden_remainder_z
      - .offset:         168
        .size:           8
        .value_kind:     hidden_global_offset_x
      - .offset:         176
        .size:           8
        .value_kind:     hidden_global_offset_y
      - .offset:         184
        .size:           8
        .value_kind:     hidden_global_offset_z
      - .offset:         192
        .size:           2
        .value_kind:     hidden_grid_dims
    .group_segment_fixed_size: 0
    .kernarg_segment_align: 8
    .kernarg_segment_size: 384
    .language:       OpenCL C
    .language_version:
      - 2
      - 0
    .max_flat_workgroup_size: 1024
    .name:           _ZN2at6native12_GLOBAL__N_132replication_pad_forward_kernel1dIN3c104HalfEEEvN5torch10headeronly6detail27GenericPackedTensorAccessorINS7_14TensorAccessorINS3_8ArrayRefIlEEKT_Lm2ENS6_16DefaultPtrTraitsElEENS_6detail16IndexBoundsCheckILm3ElEESD_Lm3ESE_lEENS8_INS9_ISB_SC_Lm2ESE_lEESI_SC_Lm3ESE_lEEiii
    .private_segment_fixed_size: 0
    .sgpr_count:     21
    .sgpr_spill_count: 0
    .symbol:         _ZN2at6native12_GLOBAL__N_132replication_pad_forward_kernel1dIN3c104HalfEEEvN5torch10headeronly6detail27GenericPackedTensorAccessorINS7_14TensorAccessorINS3_8ArrayRefIlEEKT_Lm2ENS6_16DefaultPtrTraitsElEENS_6detail16IndexBoundsCheckILm3ElEESD_Lm3ESE_lEENS8_INS9_ISB_SC_Lm2ESE_lEESI_SC_Lm3ESE_lEEiii.kd
    .uniform_work_group_size: 1
    .uses_dynamic_stack: false
    .vgpr_count:     10
    .vgpr_spill_count: 0
    .wavefront_size: 32
  - .args:
      - .offset:         0
        .size:           56
        .value_kind:     by_value
      - .offset:         56
        .size:           56
        .value_kind:     by_value
      - .offset:         112
        .size:           4
        .value_kind:     by_value
      - .offset:         116
        .size:           4
        .value_kind:     by_value
      - .offset:         120
        .size:           4
        .value_kind:     by_value
      - .offset:         128
        .size:           4
        .value_kind:     hidden_block_count_x
      - .offset:         132
        .size:           4
        .value_kind:     hidden_block_count_y
      - .offset:         136
        .size:           4
        .value_kind:     hidden_block_count_z
      - .offset:         140
        .size:           2
        .value_kind:     hidden_group_size_x
      - .offset:         142
        .size:           2
        .value_kind:     hidden_group_size_y
      - .offset:         144
        .size:           2
        .value_kind:     hidden_group_size_z
      - .offset:         146
        .size:           2
        .value_kind:     hidden_remainder_x
      - .offset:         148
        .size:           2
        .value_kind:     hidden_remainder_y
      - .offset:         150
        .size:           2
        .value_kind:     hidden_remainder_z
      - .offset:         168
        .size:           8
        .value_kind:     hidden_global_offset_x
      - .offset:         176
        .size:           8
        .value_kind:     hidden_global_offset_y
      - .offset:         184
        .size:           8
        .value_kind:     hidden_global_offset_z
      - .offset:         192
        .size:           2
        .value_kind:     hidden_grid_dims
    .group_segment_fixed_size: 0
    .kernarg_segment_align: 8
    .kernarg_segment_size: 384
    .language:       OpenCL C
    .language_version:
      - 2
      - 0
    .max_flat_workgroup_size: 1024
    .name:           _ZN2at6native12_GLOBAL__N_132replication_pad_forward_kernel1dIN3c108BFloat16EEEvN5torch10headeronly6detail27GenericPackedTensorAccessorINS7_14TensorAccessorINS3_8ArrayRefIlEEKT_Lm2ENS6_16DefaultPtrTraitsElEENS_6detail16IndexBoundsCheckILm3ElEESD_Lm3ESE_lEENS8_INS9_ISB_SC_Lm2ESE_lEESI_SC_Lm3ESE_lEEiii
    .private_segment_fixed_size: 0
    .sgpr_count:     21
    .sgpr_spill_count: 0
    .symbol:         _ZN2at6native12_GLOBAL__N_132replication_pad_forward_kernel1dIN3c108BFloat16EEEvN5torch10headeronly6detail27GenericPackedTensorAccessorINS7_14TensorAccessorINS3_8ArrayRefIlEEKT_Lm2ENS6_16DefaultPtrTraitsElEENS_6detail16IndexBoundsCheckILm3ElEESD_Lm3ESE_lEENS8_INS9_ISB_SC_Lm2ESE_lEESI_SC_Lm3ESE_lEEiii.kd
    .uniform_work_group_size: 1
    .uses_dynamic_stack: false
    .vgpr_count:     10
    .vgpr_spill_count: 0
    .wavefront_size: 32
  - .args:
      - .offset:         0
        .size:           56
        .value_kind:     by_value
      - .offset:         56
        .size:           56
        .value_kind:     by_value
      - .offset:         112
        .size:           4
        .value_kind:     by_value
      - .offset:         116
        .size:           4
        .value_kind:     by_value
      - .offset:         120
        .size:           4
        .value_kind:     by_value
      - .offset:         128
        .size:           4
        .value_kind:     hidden_block_count_x
      - .offset:         132
        .size:           4
        .value_kind:     hidden_block_count_y
      - .offset:         136
        .size:           4
        .value_kind:     hidden_block_count_z
      - .offset:         140
        .size:           2
        .value_kind:     hidden_group_size_x
      - .offset:         142
        .size:           2
        .value_kind:     hidden_group_size_y
      - .offset:         144
        .size:           2
        .value_kind:     hidden_group_size_z
      - .offset:         146
        .size:           2
        .value_kind:     hidden_remainder_x
      - .offset:         148
        .size:           2
        .value_kind:     hidden_remainder_y
      - .offset:         150
        .size:           2
        .value_kind:     hidden_remainder_z
      - .offset:         168
        .size:           8
        .value_kind:     hidden_global_offset_x
      - .offset:         176
        .size:           8
        .value_kind:     hidden_global_offset_y
      - .offset:         184
        .size:           8
        .value_kind:     hidden_global_offset_z
      - .offset:         192
        .size:           2
        .value_kind:     hidden_grid_dims
    .group_segment_fixed_size: 0
    .kernarg_segment_align: 8
    .kernarg_segment_size: 384
    .language:       OpenCL C
    .language_version:
      - 2
      - 0
    .max_flat_workgroup_size: 1024
    .name:           _ZN2at6native12_GLOBAL__N_131replication_pad_backward_kernelIdEEvN5torch10headeronly6detail27GenericPackedTensorAccessorINS5_14TensorAccessorIN3c108ArrayRefIlEET_Lm2ENS4_16DefaultPtrTraitsElEENS_6detail16IndexBoundsCheckILm3ElEESB_Lm3ESC_lEENS6_INS7_ISA_KSB_Lm2ESC_lEESG_SI_Lm3ESC_lEEiii
    .private_segment_fixed_size: 0
    .sgpr_count:     21
    .sgpr_spill_count: 0
    .symbol:         _ZN2at6native12_GLOBAL__N_131replication_pad_backward_kernelIdEEvN5torch10headeronly6detail27GenericPackedTensorAccessorINS5_14TensorAccessorIN3c108ArrayRefIlEET_Lm2ENS4_16DefaultPtrTraitsElEENS_6detail16IndexBoundsCheckILm3ElEESB_Lm3ESC_lEENS6_INS7_ISA_KSB_Lm2ESC_lEESG_SI_Lm3ESC_lEEiii.kd
    .uniform_work_group_size: 1
    .uses_dynamic_stack: false
    .vgpr_count:     10
    .vgpr_spill_count: 0
    .wavefront_size: 32
  - .args:
      - .offset:         0
        .size:           56
        .value_kind:     by_value
      - .offset:         56
        .size:           56
        .value_kind:     by_value
      - .offset:         112
        .size:           4
        .value_kind:     by_value
      - .offset:         116
        .size:           4
        .value_kind:     by_value
      - .offset:         120
        .size:           4
        .value_kind:     by_value
      - .offset:         128
        .size:           4
        .value_kind:     hidden_block_count_x
      - .offset:         132
        .size:           4
        .value_kind:     hidden_block_count_y
      - .offset:         136
        .size:           4
        .value_kind:     hidden_block_count_z
      - .offset:         140
        .size:           2
        .value_kind:     hidden_group_size_x
      - .offset:         142
        .size:           2
        .value_kind:     hidden_group_size_y
      - .offset:         144
        .size:           2
        .value_kind:     hidden_group_size_z
      - .offset:         146
        .size:           2
        .value_kind:     hidden_remainder_x
      - .offset:         148
        .size:           2
        .value_kind:     hidden_remainder_y
      - .offset:         150
        .size:           2
        .value_kind:     hidden_remainder_z
      - .offset:         168
        .size:           8
        .value_kind:     hidden_global_offset_x
      - .offset:         176
        .size:           8
        .value_kind:     hidden_global_offset_y
      - .offset:         184
        .size:           8
        .value_kind:     hidden_global_offset_z
      - .offset:         192
        .size:           2
        .value_kind:     hidden_grid_dims
    .group_segment_fixed_size: 0
    .kernarg_segment_align: 8
    .kernarg_segment_size: 384
    .language:       OpenCL C
    .language_version:
      - 2
      - 0
    .max_flat_workgroup_size: 1024
    .name:           _ZN2at6native12_GLOBAL__N_131replication_pad_backward_kernelIfEEvN5torch10headeronly6detail27GenericPackedTensorAccessorINS5_14TensorAccessorIN3c108ArrayRefIlEET_Lm2ENS4_16DefaultPtrTraitsElEENS_6detail16IndexBoundsCheckILm3ElEESB_Lm3ESC_lEENS6_INS7_ISA_KSB_Lm2ESC_lEESG_SI_Lm3ESC_lEEiii
    .private_segment_fixed_size: 0
    .sgpr_count:     21
    .sgpr_spill_count: 0
    .symbol:         _ZN2at6native12_GLOBAL__N_131replication_pad_backward_kernelIfEEvN5torch10headeronly6detail27GenericPackedTensorAccessorINS5_14TensorAccessorIN3c108ArrayRefIlEET_Lm2ENS4_16DefaultPtrTraitsElEENS_6detail16IndexBoundsCheckILm3ElEESB_Lm3ESC_lEENS6_INS7_ISA_KSB_Lm2ESC_lEESG_SI_Lm3ESC_lEEiii.kd
    .uniform_work_group_size: 1
    .uses_dynamic_stack: false
    .vgpr_count:     10
    .vgpr_spill_count: 0
    .wavefront_size: 32
  - .args:
      - .offset:         0
        .size:           56
        .value_kind:     by_value
      - .offset:         56
        .size:           56
        .value_kind:     by_value
      - .offset:         112
        .size:           4
        .value_kind:     by_value
      - .offset:         116
        .size:           4
        .value_kind:     by_value
      - .offset:         120
        .size:           4
        .value_kind:     by_value
      - .offset:         128
        .size:           4
        .value_kind:     hidden_block_count_x
      - .offset:         132
        .size:           4
        .value_kind:     hidden_block_count_y
      - .offset:         136
        .size:           4
        .value_kind:     hidden_block_count_z
      - .offset:         140
        .size:           2
        .value_kind:     hidden_group_size_x
      - .offset:         142
        .size:           2
        .value_kind:     hidden_group_size_y
      - .offset:         144
        .size:           2
        .value_kind:     hidden_group_size_z
      - .offset:         146
        .size:           2
        .value_kind:     hidden_remainder_x
      - .offset:         148
        .size:           2
        .value_kind:     hidden_remainder_y
      - .offset:         150
        .size:           2
        .value_kind:     hidden_remainder_z
      - .offset:         168
        .size:           8
        .value_kind:     hidden_global_offset_x
      - .offset:         176
        .size:           8
        .value_kind:     hidden_global_offset_y
      - .offset:         184
        .size:           8
        .value_kind:     hidden_global_offset_z
      - .offset:         192
        .size:           2
        .value_kind:     hidden_grid_dims
    .group_segment_fixed_size: 0
    .kernarg_segment_align: 8
    .kernarg_segment_size: 384
    .language:       OpenCL C
    .language_version:
      - 2
      - 0
    .max_flat_workgroup_size: 1024
    .name:           _ZN2at6native12_GLOBAL__N_131replication_pad_backward_kernelIN3c107complexIdEEEEvN5torch10headeronly6detail27GenericPackedTensorAccessorINS8_14TensorAccessorINS3_8ArrayRefIlEET_Lm2ENS7_16DefaultPtrTraitsElEENS_6detail16IndexBoundsCheckILm3ElEESD_Lm3ESE_lEENS9_INSA_ISC_KSD_Lm2ESE_lEESI_SK_Lm3ESE_lEEiii
    .private_segment_fixed_size: 0
    .sgpr_count:     21
    .sgpr_spill_count: 0
    .symbol:         _ZN2at6native12_GLOBAL__N_131replication_pad_backward_kernelIN3c107complexIdEEEEvN5torch10headeronly6detail27GenericPackedTensorAccessorINS8_14TensorAccessorINS3_8ArrayRefIlEET_Lm2ENS7_16DefaultPtrTraitsElEENS_6detail16IndexBoundsCheckILm3ElEESD_Lm3ESE_lEENS9_INSA_ISC_KSD_Lm2ESE_lEESI_SK_Lm3ESE_lEEiii.kd
    .uniform_work_group_size: 1
    .uses_dynamic_stack: false
    .vgpr_count:     10
    .vgpr_spill_count: 0
    .wavefront_size: 32
  - .args:
      - .offset:         0
        .size:           56
        .value_kind:     by_value
      - .offset:         56
        .size:           56
        .value_kind:     by_value
      - .offset:         112
        .size:           4
        .value_kind:     by_value
      - .offset:         116
        .size:           4
        .value_kind:     by_value
      - .offset:         120
        .size:           4
        .value_kind:     by_value
      - .offset:         128
        .size:           4
        .value_kind:     hidden_block_count_x
      - .offset:         132
        .size:           4
        .value_kind:     hidden_block_count_y
      - .offset:         136
        .size:           4
        .value_kind:     hidden_block_count_z
      - .offset:         140
        .size:           2
        .value_kind:     hidden_group_size_x
      - .offset:         142
        .size:           2
        .value_kind:     hidden_group_size_y
      - .offset:         144
        .size:           2
        .value_kind:     hidden_group_size_z
      - .offset:         146
        .size:           2
        .value_kind:     hidden_remainder_x
      - .offset:         148
        .size:           2
        .value_kind:     hidden_remainder_y
      - .offset:         150
        .size:           2
        .value_kind:     hidden_remainder_z
      - .offset:         168
        .size:           8
        .value_kind:     hidden_global_offset_x
      - .offset:         176
        .size:           8
        .value_kind:     hidden_global_offset_y
      - .offset:         184
        .size:           8
        .value_kind:     hidden_global_offset_z
      - .offset:         192
        .size:           2
        .value_kind:     hidden_grid_dims
    .group_segment_fixed_size: 0
    .kernarg_segment_align: 8
    .kernarg_segment_size: 384
    .language:       OpenCL C
    .language_version:
      - 2
      - 0
    .max_flat_workgroup_size: 1024
    .name:           _ZN2at6native12_GLOBAL__N_131replication_pad_backward_kernelIN3c107complexIfEEEEvN5torch10headeronly6detail27GenericPackedTensorAccessorINS8_14TensorAccessorINS3_8ArrayRefIlEET_Lm2ENS7_16DefaultPtrTraitsElEENS_6detail16IndexBoundsCheckILm3ElEESD_Lm3ESE_lEENS9_INSA_ISC_KSD_Lm2ESE_lEESI_SK_Lm3ESE_lEEiii
    .private_segment_fixed_size: 0
    .sgpr_count:     21
    .sgpr_spill_count: 0
    .symbol:         _ZN2at6native12_GLOBAL__N_131replication_pad_backward_kernelIN3c107complexIfEEEEvN5torch10headeronly6detail27GenericPackedTensorAccessorINS8_14TensorAccessorINS3_8ArrayRefIlEET_Lm2ENS7_16DefaultPtrTraitsElEENS_6detail16IndexBoundsCheckILm3ElEESD_Lm3ESE_lEENS9_INSA_ISC_KSD_Lm2ESE_lEESI_SK_Lm3ESE_lEEiii.kd
    .uniform_work_group_size: 1
    .uses_dynamic_stack: false
    .vgpr_count:     10
    .vgpr_spill_count: 0
    .wavefront_size: 32
  - .args:
      - .offset:         0
        .size:           56
        .value_kind:     by_value
      - .offset:         56
        .size:           56
        .value_kind:     by_value
      - .offset:         112
        .size:           4
        .value_kind:     by_value
      - .offset:         116
        .size:           4
        .value_kind:     by_value
      - .offset:         120
        .size:           4
        .value_kind:     by_value
      - .offset:         128
        .size:           4
        .value_kind:     hidden_block_count_x
      - .offset:         132
        .size:           4
        .value_kind:     hidden_block_count_y
      - .offset:         136
        .size:           4
        .value_kind:     hidden_block_count_z
      - .offset:         140
        .size:           2
        .value_kind:     hidden_group_size_x
      - .offset:         142
        .size:           2
        .value_kind:     hidden_group_size_y
      - .offset:         144
        .size:           2
        .value_kind:     hidden_group_size_z
      - .offset:         146
        .size:           2
        .value_kind:     hidden_remainder_x
      - .offset:         148
        .size:           2
        .value_kind:     hidden_remainder_y
      - .offset:         150
        .size:           2
        .value_kind:     hidden_remainder_z
      - .offset:         168
        .size:           8
        .value_kind:     hidden_global_offset_x
      - .offset:         176
        .size:           8
        .value_kind:     hidden_global_offset_y
      - .offset:         184
        .size:           8
        .value_kind:     hidden_global_offset_z
      - .offset:         192
        .size:           2
        .value_kind:     hidden_grid_dims
    .group_segment_fixed_size: 0
    .kernarg_segment_align: 8
    .kernarg_segment_size: 384
    .language:       OpenCL C
    .language_version:
      - 2
      - 0
    .max_flat_workgroup_size: 1024
    .name:           _ZN2at6native12_GLOBAL__N_131replication_pad_backward_kernelIN3c104HalfEEEvN5torch10headeronly6detail27GenericPackedTensorAccessorINS7_14TensorAccessorINS3_8ArrayRefIlEET_Lm2ENS6_16DefaultPtrTraitsElEENS_6detail16IndexBoundsCheckILm3ElEESC_Lm3ESD_lEENS8_INS9_ISB_KSC_Lm2ESD_lEESH_SJ_Lm3ESD_lEEiii
    .private_segment_fixed_size: 0
    .sgpr_count:     23
    .sgpr_spill_count: 0
    .symbol:         _ZN2at6native12_GLOBAL__N_131replication_pad_backward_kernelIN3c104HalfEEEvN5torch10headeronly6detail27GenericPackedTensorAccessorINS7_14TensorAccessorINS3_8ArrayRefIlEET_Lm2ENS6_16DefaultPtrTraitsElEENS_6detail16IndexBoundsCheckILm3ElEESC_Lm3ESD_lEENS8_INS9_ISB_KSC_Lm2ESD_lEESH_SJ_Lm3ESD_lEEiii.kd
    .uniform_work_group_size: 1
    .uses_dynamic_stack: false
    .vgpr_count:     10
    .vgpr_spill_count: 0
    .wavefront_size: 32
  - .args:
      - .offset:         0
        .size:           56
        .value_kind:     by_value
      - .offset:         56
        .size:           56
        .value_kind:     by_value
      - .offset:         112
        .size:           4
        .value_kind:     by_value
      - .offset:         116
        .size:           4
        .value_kind:     by_value
      - .offset:         120
        .size:           4
        .value_kind:     by_value
      - .offset:         128
        .size:           4
        .value_kind:     hidden_block_count_x
      - .offset:         132
        .size:           4
        .value_kind:     hidden_block_count_y
      - .offset:         136
        .size:           4
        .value_kind:     hidden_block_count_z
      - .offset:         140
        .size:           2
        .value_kind:     hidden_group_size_x
      - .offset:         142
        .size:           2
        .value_kind:     hidden_group_size_y
      - .offset:         144
        .size:           2
        .value_kind:     hidden_group_size_z
      - .offset:         146
        .size:           2
        .value_kind:     hidden_remainder_x
      - .offset:         148
        .size:           2
        .value_kind:     hidden_remainder_y
      - .offset:         150
        .size:           2
        .value_kind:     hidden_remainder_z
      - .offset:         168
        .size:           8
        .value_kind:     hidden_global_offset_x
      - .offset:         176
        .size:           8
        .value_kind:     hidden_global_offset_y
      - .offset:         184
        .size:           8
        .value_kind:     hidden_global_offset_z
      - .offset:         192
        .size:           2
        .value_kind:     hidden_grid_dims
    .group_segment_fixed_size: 0
    .kernarg_segment_align: 8
    .kernarg_segment_size: 384
    .language:       OpenCL C
    .language_version:
      - 2
      - 0
    .max_flat_workgroup_size: 1024
    .name:           _ZN2at6native12_GLOBAL__N_131replication_pad_backward_kernelIN3c108BFloat16EEEvN5torch10headeronly6detail27GenericPackedTensorAccessorINS7_14TensorAccessorINS3_8ArrayRefIlEET_Lm2ENS6_16DefaultPtrTraitsElEENS_6detail16IndexBoundsCheckILm3ElEESC_Lm3ESD_lEENS8_INS9_ISB_KSC_Lm2ESD_lEESH_SJ_Lm3ESD_lEEiii
    .private_segment_fixed_size: 0
    .sgpr_count:     23
    .sgpr_spill_count: 0
    .symbol:         _ZN2at6native12_GLOBAL__N_131replication_pad_backward_kernelIN3c108BFloat16EEEvN5torch10headeronly6detail27GenericPackedTensorAccessorINS7_14TensorAccessorINS3_8ArrayRefIlEET_Lm2ENS6_16DefaultPtrTraitsElEENS_6detail16IndexBoundsCheckILm3ElEESC_Lm3ESD_lEENS8_INS9_ISB_KSC_Lm2ESD_lEESH_SJ_Lm3ESD_lEEiii.kd
    .uniform_work_group_size: 1
    .uses_dynamic_stack: false
    .vgpr_count:     10
    .vgpr_spill_count: 0
    .wavefront_size: 32
  - .args:
      - .offset:         0
        .size:           72
        .value_kind:     by_value
      - .offset:         72
        .size:           72
        .value_kind:     by_value
      - .offset:         144
        .size:           4
        .value_kind:     by_value
      - .offset:         148
        .size:           4
        .value_kind:     by_value
      - .offset:         152
        .size:           4
        .value_kind:     by_value
      - .offset:         156
        .size:           4
        .value_kind:     by_value
      - .offset:         160
        .size:           4
        .value_kind:     hidden_block_count_x
      - .offset:         164
        .size:           4
        .value_kind:     hidden_block_count_y
      - .offset:         168
        .size:           4
        .value_kind:     hidden_block_count_z
      - .offset:         172
        .size:           2
        .value_kind:     hidden_group_size_x
      - .offset:         174
        .size:           2
        .value_kind:     hidden_group_size_y
      - .offset:         176
        .size:           2
        .value_kind:     hidden_group_size_z
      - .offset:         178
        .size:           2
        .value_kind:     hidden_remainder_x
      - .offset:         180
        .size:           2
        .value_kind:     hidden_remainder_y
      - .offset:         182
        .size:           2
        .value_kind:     hidden_remainder_z
      - .offset:         200
        .size:           8
        .value_kind:     hidden_global_offset_x
      - .offset:         208
        .size:           8
        .value_kind:     hidden_global_offset_y
      - .offset:         216
        .size:           8
        .value_kind:     hidden_global_offset_z
      - .offset:         224
        .size:           2
        .value_kind:     hidden_grid_dims
    .group_segment_fixed_size: 0
    .kernarg_segment_align: 8
    .kernarg_segment_size: 416
    .language:       OpenCL C
    .language_version:
      - 2
      - 0
    .max_flat_workgroup_size: 1024
    .name:           _ZN2at6native12_GLOBAL__N_132replication_pad_forward_kernel2dIhEEvN5torch10headeronly6detail27GenericPackedTensorAccessorINS5_14TensorAccessorIN3c108ArrayRefIlEEKT_Lm3ENS4_16DefaultPtrTraitsElEENS_6detail16IndexBoundsCheckILm4ElEESC_Lm4ESD_lEENS6_INS7_ISA_SB_Lm3ESD_lEESH_SB_Lm4ESD_lEEiiii
    .private_segment_fixed_size: 0
    .sgpr_count:     25
    .sgpr_spill_count: 0
    .symbol:         _ZN2at6native12_GLOBAL__N_132replication_pad_forward_kernel2dIhEEvN5torch10headeronly6detail27GenericPackedTensorAccessorINS5_14TensorAccessorIN3c108ArrayRefIlEEKT_Lm3ENS4_16DefaultPtrTraitsElEENS_6detail16IndexBoundsCheckILm4ElEESC_Lm4ESD_lEENS6_INS7_ISA_SB_Lm3ESD_lEESH_SB_Lm4ESD_lEEiiii.kd
    .uniform_work_group_size: 1
    .uses_dynamic_stack: false
    .vgpr_count:     18
    .vgpr_spill_count: 0
    .wavefront_size: 32
  - .args:
      - .offset:         0
        .size:           72
        .value_kind:     by_value
      - .offset:         72
        .size:           72
        .value_kind:     by_value
      - .offset:         144
        .size:           4
        .value_kind:     by_value
      - .offset:         148
        .size:           4
        .value_kind:     by_value
      - .offset:         152
        .size:           4
        .value_kind:     by_value
      - .offset:         156
        .size:           4
        .value_kind:     by_value
      - .offset:         160
        .size:           4
        .value_kind:     hidden_block_count_x
      - .offset:         164
        .size:           4
        .value_kind:     hidden_block_count_y
      - .offset:         168
        .size:           4
        .value_kind:     hidden_block_count_z
      - .offset:         172
        .size:           2
        .value_kind:     hidden_group_size_x
      - .offset:         174
        .size:           2
        .value_kind:     hidden_group_size_y
      - .offset:         176
        .size:           2
        .value_kind:     hidden_group_size_z
      - .offset:         178
        .size:           2
        .value_kind:     hidden_remainder_x
      - .offset:         180
        .size:           2
        .value_kind:     hidden_remainder_y
      - .offset:         182
        .size:           2
        .value_kind:     hidden_remainder_z
      - .offset:         200
        .size:           8
        .value_kind:     hidden_global_offset_x
      - .offset:         208
        .size:           8
        .value_kind:     hidden_global_offset_y
      - .offset:         216
        .size:           8
        .value_kind:     hidden_global_offset_z
      - .offset:         224
        .size:           2
        .value_kind:     hidden_grid_dims
    .group_segment_fixed_size: 0
    .kernarg_segment_align: 8
    .kernarg_segment_size: 416
    .language:       OpenCL C
    .language_version:
      - 2
      - 0
    .max_flat_workgroup_size: 1024
    .name:           _ZN2at6native12_GLOBAL__N_132replication_pad_forward_kernel2dIaEEvN5torch10headeronly6detail27GenericPackedTensorAccessorINS5_14TensorAccessorIN3c108ArrayRefIlEEKT_Lm3ENS4_16DefaultPtrTraitsElEENS_6detail16IndexBoundsCheckILm4ElEESC_Lm4ESD_lEENS6_INS7_ISA_SB_Lm3ESD_lEESH_SB_Lm4ESD_lEEiiii
    .private_segment_fixed_size: 0
    .sgpr_count:     25
    .sgpr_spill_count: 0
    .symbol:         _ZN2at6native12_GLOBAL__N_132replication_pad_forward_kernel2dIaEEvN5torch10headeronly6detail27GenericPackedTensorAccessorINS5_14TensorAccessorIN3c108ArrayRefIlEEKT_Lm3ENS4_16DefaultPtrTraitsElEENS_6detail16IndexBoundsCheckILm4ElEESC_Lm4ESD_lEENS6_INS7_ISA_SB_Lm3ESD_lEESH_SB_Lm4ESD_lEEiiii.kd
    .uniform_work_group_size: 1
    .uses_dynamic_stack: false
    .vgpr_count:     18
    .vgpr_spill_count: 0
    .wavefront_size: 32
  - .args:
      - .offset:         0
        .size:           72
        .value_kind:     by_value
      - .offset:         72
        .size:           72
        .value_kind:     by_value
      - .offset:         144
        .size:           4
        .value_kind:     by_value
      - .offset:         148
        .size:           4
        .value_kind:     by_value
      - .offset:         152
        .size:           4
        .value_kind:     by_value
      - .offset:         156
        .size:           4
        .value_kind:     by_value
      - .offset:         160
        .size:           4
        .value_kind:     hidden_block_count_x
      - .offset:         164
        .size:           4
        .value_kind:     hidden_block_count_y
      - .offset:         168
        .size:           4
        .value_kind:     hidden_block_count_z
      - .offset:         172
        .size:           2
        .value_kind:     hidden_group_size_x
      - .offset:         174
        .size:           2
        .value_kind:     hidden_group_size_y
      - .offset:         176
        .size:           2
        .value_kind:     hidden_group_size_z
      - .offset:         178
        .size:           2
        .value_kind:     hidden_remainder_x
      - .offset:         180
        .size:           2
        .value_kind:     hidden_remainder_y
      - .offset:         182
        .size:           2
        .value_kind:     hidden_remainder_z
      - .offset:         200
        .size:           8
        .value_kind:     hidden_global_offset_x
      - .offset:         208
        .size:           8
        .value_kind:     hidden_global_offset_y
      - .offset:         216
        .size:           8
        .value_kind:     hidden_global_offset_z
      - .offset:         224
        .size:           2
        .value_kind:     hidden_grid_dims
    .group_segment_fixed_size: 0
    .kernarg_segment_align: 8
    .kernarg_segment_size: 416
    .language:       OpenCL C
    .language_version:
      - 2
      - 0
    .max_flat_workgroup_size: 1024
    .name:           _ZN2at6native12_GLOBAL__N_132replication_pad_forward_kernel2dIiEEvN5torch10headeronly6detail27GenericPackedTensorAccessorINS5_14TensorAccessorIN3c108ArrayRefIlEEKT_Lm3ENS4_16DefaultPtrTraitsElEENS_6detail16IndexBoundsCheckILm4ElEESC_Lm4ESD_lEENS6_INS7_ISA_SB_Lm3ESD_lEESH_SB_Lm4ESD_lEEiiii
    .private_segment_fixed_size: 0
    .sgpr_count:     24
    .sgpr_spill_count: 0
    .symbol:         _ZN2at6native12_GLOBAL__N_132replication_pad_forward_kernel2dIiEEvN5torch10headeronly6detail27GenericPackedTensorAccessorINS5_14TensorAccessorIN3c108ArrayRefIlEEKT_Lm3ENS4_16DefaultPtrTraitsElEENS_6detail16IndexBoundsCheckILm4ElEESC_Lm4ESD_lEENS6_INS7_ISA_SB_Lm3ESD_lEESH_SB_Lm4ESD_lEEiiii.kd
    .uniform_work_group_size: 1
    .uses_dynamic_stack: false
    .vgpr_count:     18
    .vgpr_spill_count: 0
    .wavefront_size: 32
  - .args:
      - .offset:         0
        .size:           72
        .value_kind:     by_value
      - .offset:         72
        .size:           72
        .value_kind:     by_value
      - .offset:         144
        .size:           4
        .value_kind:     by_value
      - .offset:         148
        .size:           4
        .value_kind:     by_value
      - .offset:         152
        .size:           4
        .value_kind:     by_value
      - .offset:         156
        .size:           4
        .value_kind:     by_value
      - .offset:         160
        .size:           4
        .value_kind:     hidden_block_count_x
      - .offset:         164
        .size:           4
        .value_kind:     hidden_block_count_y
      - .offset:         168
        .size:           4
        .value_kind:     hidden_block_count_z
      - .offset:         172
        .size:           2
        .value_kind:     hidden_group_size_x
      - .offset:         174
        .size:           2
        .value_kind:     hidden_group_size_y
      - .offset:         176
        .size:           2
        .value_kind:     hidden_group_size_z
      - .offset:         178
        .size:           2
        .value_kind:     hidden_remainder_x
      - .offset:         180
        .size:           2
        .value_kind:     hidden_remainder_y
      - .offset:         182
        .size:           2
        .value_kind:     hidden_remainder_z
      - .offset:         200
        .size:           8
        .value_kind:     hidden_global_offset_x
      - .offset:         208
        .size:           8
        .value_kind:     hidden_global_offset_y
      - .offset:         216
        .size:           8
        .value_kind:     hidden_global_offset_z
      - .offset:         224
        .size:           2
        .value_kind:     hidden_grid_dims
    .group_segment_fixed_size: 0
    .kernarg_segment_align: 8
    .kernarg_segment_size: 416
    .language:       OpenCL C
    .language_version:
      - 2
      - 0
    .max_flat_workgroup_size: 1024
    .name:           _ZN2at6native12_GLOBAL__N_132replication_pad_forward_kernel2dIlEEvN5torch10headeronly6detail27GenericPackedTensorAccessorINS5_14TensorAccessorIN3c108ArrayRefIlEEKT_Lm3ENS4_16DefaultPtrTraitsElEENS_6detail16IndexBoundsCheckILm4ElEESC_Lm4ESD_lEENS6_INS7_ISA_SB_Lm3ESD_lEESH_SB_Lm4ESD_lEEiiii
    .private_segment_fixed_size: 0
    .sgpr_count:     24
    .sgpr_spill_count: 0
    .symbol:         _ZN2at6native12_GLOBAL__N_132replication_pad_forward_kernel2dIlEEvN5torch10headeronly6detail27GenericPackedTensorAccessorINS5_14TensorAccessorIN3c108ArrayRefIlEEKT_Lm3ENS4_16DefaultPtrTraitsElEENS_6detail16IndexBoundsCheckILm4ElEESC_Lm4ESD_lEENS6_INS7_ISA_SB_Lm3ESD_lEESH_SB_Lm4ESD_lEEiiii.kd
    .uniform_work_group_size: 1
    .uses_dynamic_stack: false
    .vgpr_count:     18
    .vgpr_spill_count: 0
    .wavefront_size: 32
  - .args:
      - .offset:         0
        .size:           72
        .value_kind:     by_value
      - .offset:         72
        .size:           72
        .value_kind:     by_value
      - .offset:         144
        .size:           4
        .value_kind:     by_value
      - .offset:         148
        .size:           4
        .value_kind:     by_value
      - .offset:         152
        .size:           4
        .value_kind:     by_value
      - .offset:         156
        .size:           4
        .value_kind:     by_value
      - .offset:         160
        .size:           4
        .value_kind:     hidden_block_count_x
      - .offset:         164
        .size:           4
        .value_kind:     hidden_block_count_y
      - .offset:         168
        .size:           4
        .value_kind:     hidden_block_count_z
      - .offset:         172
        .size:           2
        .value_kind:     hidden_group_size_x
      - .offset:         174
        .size:           2
        .value_kind:     hidden_group_size_y
      - .offset:         176
        .size:           2
        .value_kind:     hidden_group_size_z
      - .offset:         178
        .size:           2
        .value_kind:     hidden_remainder_x
      - .offset:         180
        .size:           2
        .value_kind:     hidden_remainder_y
      - .offset:         182
        .size:           2
        .value_kind:     hidden_remainder_z
      - .offset:         200
        .size:           8
        .value_kind:     hidden_global_offset_x
      - .offset:         208
        .size:           8
        .value_kind:     hidden_global_offset_y
      - .offset:         216
        .size:           8
        .value_kind:     hidden_global_offset_z
      - .offset:         224
        .size:           2
        .value_kind:     hidden_grid_dims
    .group_segment_fixed_size: 0
    .kernarg_segment_align: 8
    .kernarg_segment_size: 416
    .language:       OpenCL C
    .language_version:
      - 2
      - 0
    .max_flat_workgroup_size: 1024
    .name:           _ZN2at6native12_GLOBAL__N_132replication_pad_forward_kernel2dIsEEvN5torch10headeronly6detail27GenericPackedTensorAccessorINS5_14TensorAccessorIN3c108ArrayRefIlEEKT_Lm3ENS4_16DefaultPtrTraitsElEENS_6detail16IndexBoundsCheckILm4ElEESC_Lm4ESD_lEENS6_INS7_ISA_SB_Lm3ESD_lEESH_SB_Lm4ESD_lEEiiii
    .private_segment_fixed_size: 0
    .sgpr_count:     24
    .sgpr_spill_count: 0
    .symbol:         _ZN2at6native12_GLOBAL__N_132replication_pad_forward_kernel2dIsEEvN5torch10headeronly6detail27GenericPackedTensorAccessorINS5_14TensorAccessorIN3c108ArrayRefIlEEKT_Lm3ENS4_16DefaultPtrTraitsElEENS_6detail16IndexBoundsCheckILm4ElEESC_Lm4ESD_lEENS6_INS7_ISA_SB_Lm3ESD_lEESH_SB_Lm4ESD_lEEiiii.kd
    .uniform_work_group_size: 1
    .uses_dynamic_stack: false
    .vgpr_count:     18
    .vgpr_spill_count: 0
    .wavefront_size: 32
  - .args:
      - .offset:         0
        .size:           72
        .value_kind:     by_value
      - .offset:         72
        .size:           72
        .value_kind:     by_value
      - .offset:         144
        .size:           4
        .value_kind:     by_value
      - .offset:         148
        .size:           4
        .value_kind:     by_value
      - .offset:         152
        .size:           4
        .value_kind:     by_value
      - .offset:         156
        .size:           4
        .value_kind:     by_value
      - .offset:         160
        .size:           4
        .value_kind:     hidden_block_count_x
      - .offset:         164
        .size:           4
        .value_kind:     hidden_block_count_y
      - .offset:         168
        .size:           4
        .value_kind:     hidden_block_count_z
      - .offset:         172
        .size:           2
        .value_kind:     hidden_group_size_x
      - .offset:         174
        .size:           2
        .value_kind:     hidden_group_size_y
      - .offset:         176
        .size:           2
        .value_kind:     hidden_group_size_z
      - .offset:         178
        .size:           2
        .value_kind:     hidden_remainder_x
      - .offset:         180
        .size:           2
        .value_kind:     hidden_remainder_y
      - .offset:         182
        .size:           2
        .value_kind:     hidden_remainder_z
      - .offset:         200
        .size:           8
        .value_kind:     hidden_global_offset_x
      - .offset:         208
        .size:           8
        .value_kind:     hidden_global_offset_y
      - .offset:         216
        .size:           8
        .value_kind:     hidden_global_offset_z
      - .offset:         224
        .size:           2
        .value_kind:     hidden_grid_dims
    .group_segment_fixed_size: 0
    .kernarg_segment_align: 8
    .kernarg_segment_size: 416
    .language:       OpenCL C
    .language_version:
      - 2
      - 0
    .max_flat_workgroup_size: 1024
    .name:           _ZN2at6native12_GLOBAL__N_132replication_pad_forward_kernel2dIdEEvN5torch10headeronly6detail27GenericPackedTensorAccessorINS5_14TensorAccessorIN3c108ArrayRefIlEEKT_Lm3ENS4_16DefaultPtrTraitsElEENS_6detail16IndexBoundsCheckILm4ElEESC_Lm4ESD_lEENS6_INS7_ISA_SB_Lm3ESD_lEESH_SB_Lm4ESD_lEEiiii
    .private_segment_fixed_size: 0
    .sgpr_count:     24
    .sgpr_spill_count: 0
    .symbol:         _ZN2at6native12_GLOBAL__N_132replication_pad_forward_kernel2dIdEEvN5torch10headeronly6detail27GenericPackedTensorAccessorINS5_14TensorAccessorIN3c108ArrayRefIlEEKT_Lm3ENS4_16DefaultPtrTraitsElEENS_6detail16IndexBoundsCheckILm4ElEESC_Lm4ESD_lEENS6_INS7_ISA_SB_Lm3ESD_lEESH_SB_Lm4ESD_lEEiiii.kd
    .uniform_work_group_size: 1
    .uses_dynamic_stack: false
    .vgpr_count:     18
    .vgpr_spill_count: 0
    .wavefront_size: 32
  - .args:
      - .offset:         0
        .size:           72
        .value_kind:     by_value
      - .offset:         72
        .size:           72
        .value_kind:     by_value
      - .offset:         144
        .size:           4
        .value_kind:     by_value
      - .offset:         148
        .size:           4
        .value_kind:     by_value
      - .offset:         152
        .size:           4
        .value_kind:     by_value
      - .offset:         156
        .size:           4
        .value_kind:     by_value
      - .offset:         160
        .size:           4
        .value_kind:     hidden_block_count_x
      - .offset:         164
        .size:           4
        .value_kind:     hidden_block_count_y
      - .offset:         168
        .size:           4
        .value_kind:     hidden_block_count_z
      - .offset:         172
        .size:           2
        .value_kind:     hidden_group_size_x
      - .offset:         174
        .size:           2
        .value_kind:     hidden_group_size_y
      - .offset:         176
        .size:           2
        .value_kind:     hidden_group_size_z
      - .offset:         178
        .size:           2
        .value_kind:     hidden_remainder_x
      - .offset:         180
        .size:           2
        .value_kind:     hidden_remainder_y
      - .offset:         182
        .size:           2
        .value_kind:     hidden_remainder_z
      - .offset:         200
        .size:           8
        .value_kind:     hidden_global_offset_x
      - .offset:         208
        .size:           8
        .value_kind:     hidden_global_offset_y
      - .offset:         216
        .size:           8
        .value_kind:     hidden_global_offset_z
      - .offset:         224
        .size:           2
        .value_kind:     hidden_grid_dims
    .group_segment_fixed_size: 0
    .kernarg_segment_align: 8
    .kernarg_segment_size: 416
    .language:       OpenCL C
    .language_version:
      - 2
      - 0
    .max_flat_workgroup_size: 1024
    .name:           _ZN2at6native12_GLOBAL__N_132replication_pad_forward_kernel2dIfEEvN5torch10headeronly6detail27GenericPackedTensorAccessorINS5_14TensorAccessorIN3c108ArrayRefIlEEKT_Lm3ENS4_16DefaultPtrTraitsElEENS_6detail16IndexBoundsCheckILm4ElEESC_Lm4ESD_lEENS6_INS7_ISA_SB_Lm3ESD_lEESH_SB_Lm4ESD_lEEiiii
    .private_segment_fixed_size: 0
    .sgpr_count:     24
    .sgpr_spill_count: 0
    .symbol:         _ZN2at6native12_GLOBAL__N_132replication_pad_forward_kernel2dIfEEvN5torch10headeronly6detail27GenericPackedTensorAccessorINS5_14TensorAccessorIN3c108ArrayRefIlEEKT_Lm3ENS4_16DefaultPtrTraitsElEENS_6detail16IndexBoundsCheckILm4ElEESC_Lm4ESD_lEENS6_INS7_ISA_SB_Lm3ESD_lEESH_SB_Lm4ESD_lEEiiii.kd
    .uniform_work_group_size: 1
    .uses_dynamic_stack: false
    .vgpr_count:     18
    .vgpr_spill_count: 0
    .wavefront_size: 32
  - .args:
      - .offset:         0
        .size:           72
        .value_kind:     by_value
      - .offset:         72
        .size:           72
        .value_kind:     by_value
      - .offset:         144
        .size:           4
        .value_kind:     by_value
      - .offset:         148
        .size:           4
        .value_kind:     by_value
      - .offset:         152
        .size:           4
        .value_kind:     by_value
      - .offset:         156
        .size:           4
        .value_kind:     by_value
      - .offset:         160
        .size:           4
        .value_kind:     hidden_block_count_x
      - .offset:         164
        .size:           4
        .value_kind:     hidden_block_count_y
      - .offset:         168
        .size:           4
        .value_kind:     hidden_block_count_z
      - .offset:         172
        .size:           2
        .value_kind:     hidden_group_size_x
      - .offset:         174
        .size:           2
        .value_kind:     hidden_group_size_y
      - .offset:         176
        .size:           2
        .value_kind:     hidden_group_size_z
      - .offset:         178
        .size:           2
        .value_kind:     hidden_remainder_x
      - .offset:         180
        .size:           2
        .value_kind:     hidden_remainder_y
      - .offset:         182
        .size:           2
        .value_kind:     hidden_remainder_z
      - .offset:         200
        .size:           8
        .value_kind:     hidden_global_offset_x
      - .offset:         208
        .size:           8
        .value_kind:     hidden_global_offset_y
      - .offset:         216
        .size:           8
        .value_kind:     hidden_global_offset_z
      - .offset:         224
        .size:           2
        .value_kind:     hidden_grid_dims
    .group_segment_fixed_size: 0
    .kernarg_segment_align: 8
    .kernarg_segment_size: 416
    .language:       OpenCL C
    .language_version:
      - 2
      - 0
    .max_flat_workgroup_size: 1024
    .name:           _ZN2at6native12_GLOBAL__N_132replication_pad_forward_kernel2dIN3c107complexIdEEEEvN5torch10headeronly6detail27GenericPackedTensorAccessorINS8_14TensorAccessorINS3_8ArrayRefIlEEKT_Lm3ENS7_16DefaultPtrTraitsElEENS_6detail16IndexBoundsCheckILm4ElEESE_Lm4ESF_lEENS9_INSA_ISC_SD_Lm3ESF_lEESJ_SD_Lm4ESF_lEEiiii
    .private_segment_fixed_size: 0
    .sgpr_count:     24
    .sgpr_spill_count: 0
    .symbol:         _ZN2at6native12_GLOBAL__N_132replication_pad_forward_kernel2dIN3c107complexIdEEEEvN5torch10headeronly6detail27GenericPackedTensorAccessorINS8_14TensorAccessorINS3_8ArrayRefIlEEKT_Lm3ENS7_16DefaultPtrTraitsElEENS_6detail16IndexBoundsCheckILm4ElEESE_Lm4ESF_lEENS9_INSA_ISC_SD_Lm3ESF_lEESJ_SD_Lm4ESF_lEEiiii.kd
    .uniform_work_group_size: 1
    .uses_dynamic_stack: false
    .vgpr_count:     18
    .vgpr_spill_count: 0
    .wavefront_size: 32
  - .args:
      - .offset:         0
        .size:           72
        .value_kind:     by_value
      - .offset:         72
        .size:           72
        .value_kind:     by_value
      - .offset:         144
        .size:           4
        .value_kind:     by_value
      - .offset:         148
        .size:           4
        .value_kind:     by_value
      - .offset:         152
        .size:           4
        .value_kind:     by_value
      - .offset:         156
        .size:           4
        .value_kind:     by_value
      - .offset:         160
        .size:           4
        .value_kind:     hidden_block_count_x
      - .offset:         164
        .size:           4
        .value_kind:     hidden_block_count_y
      - .offset:         168
        .size:           4
        .value_kind:     hidden_block_count_z
      - .offset:         172
        .size:           2
        .value_kind:     hidden_group_size_x
      - .offset:         174
        .size:           2
        .value_kind:     hidden_group_size_y
      - .offset:         176
        .size:           2
        .value_kind:     hidden_group_size_z
      - .offset:         178
        .size:           2
        .value_kind:     hidden_remainder_x
      - .offset:         180
        .size:           2
        .value_kind:     hidden_remainder_y
      - .offset:         182
        .size:           2
        .value_kind:     hidden_remainder_z
      - .offset:         200
        .size:           8
        .value_kind:     hidden_global_offset_x
      - .offset:         208
        .size:           8
        .value_kind:     hidden_global_offset_y
      - .offset:         216
        .size:           8
        .value_kind:     hidden_global_offset_z
      - .offset:         224
        .size:           2
        .value_kind:     hidden_grid_dims
    .group_segment_fixed_size: 0
    .kernarg_segment_align: 8
    .kernarg_segment_size: 416
    .language:       OpenCL C
    .language_version:
      - 2
      - 0
    .max_flat_workgroup_size: 1024
    .name:           _ZN2at6native12_GLOBAL__N_132replication_pad_forward_kernel2dIN3c107complexIfEEEEvN5torch10headeronly6detail27GenericPackedTensorAccessorINS8_14TensorAccessorINS3_8ArrayRefIlEEKT_Lm3ENS7_16DefaultPtrTraitsElEENS_6detail16IndexBoundsCheckILm4ElEESE_Lm4ESF_lEENS9_INSA_ISC_SD_Lm3ESF_lEESJ_SD_Lm4ESF_lEEiiii
    .private_segment_fixed_size: 0
    .sgpr_count:     24
    .sgpr_spill_count: 0
    .symbol:         _ZN2at6native12_GLOBAL__N_132replication_pad_forward_kernel2dIN3c107complexIfEEEEvN5torch10headeronly6detail27GenericPackedTensorAccessorINS8_14TensorAccessorINS3_8ArrayRefIlEEKT_Lm3ENS7_16DefaultPtrTraitsElEENS_6detail16IndexBoundsCheckILm4ElEESE_Lm4ESF_lEENS9_INSA_ISC_SD_Lm3ESF_lEESJ_SD_Lm4ESF_lEEiiii.kd
    .uniform_work_group_size: 1
    .uses_dynamic_stack: false
    .vgpr_count:     18
    .vgpr_spill_count: 0
    .wavefront_size: 32
  - .args:
      - .offset:         0
        .size:           72
        .value_kind:     by_value
      - .offset:         72
        .size:           72
        .value_kind:     by_value
      - .offset:         144
        .size:           4
        .value_kind:     by_value
      - .offset:         148
        .size:           4
        .value_kind:     by_value
      - .offset:         152
        .size:           4
        .value_kind:     by_value
      - .offset:         156
        .size:           4
        .value_kind:     by_value
      - .offset:         160
        .size:           4
        .value_kind:     hidden_block_count_x
      - .offset:         164
        .size:           4
        .value_kind:     hidden_block_count_y
      - .offset:         168
        .size:           4
        .value_kind:     hidden_block_count_z
      - .offset:         172
        .size:           2
        .value_kind:     hidden_group_size_x
      - .offset:         174
        .size:           2
        .value_kind:     hidden_group_size_y
      - .offset:         176
        .size:           2
        .value_kind:     hidden_group_size_z
      - .offset:         178
        .size:           2
        .value_kind:     hidden_remainder_x
      - .offset:         180
        .size:           2
        .value_kind:     hidden_remainder_y
      - .offset:         182
        .size:           2
        .value_kind:     hidden_remainder_z
      - .offset:         200
        .size:           8
        .value_kind:     hidden_global_offset_x
      - .offset:         208
        .size:           8
        .value_kind:     hidden_global_offset_y
      - .offset:         216
        .size:           8
        .value_kind:     hidden_global_offset_z
      - .offset:         224
        .size:           2
        .value_kind:     hidden_grid_dims
    .group_segment_fixed_size: 0
    .kernarg_segment_align: 8
    .kernarg_segment_size: 416
    .language:       OpenCL C
    .language_version:
      - 2
      - 0
    .max_flat_workgroup_size: 1024
    .name:           _ZN2at6native12_GLOBAL__N_132replication_pad_forward_kernel2dIN3c104HalfEEEvN5torch10headeronly6detail27GenericPackedTensorAccessorINS7_14TensorAccessorINS3_8ArrayRefIlEEKT_Lm3ENS6_16DefaultPtrTraitsElEENS_6detail16IndexBoundsCheckILm4ElEESD_Lm4ESE_lEENS8_INS9_ISB_SC_Lm3ESE_lEESI_SC_Lm4ESE_lEEiiii
    .private_segment_fixed_size: 0
    .sgpr_count:     24
    .sgpr_spill_count: 0
    .symbol:         _ZN2at6native12_GLOBAL__N_132replication_pad_forward_kernel2dIN3c104HalfEEEvN5torch10headeronly6detail27GenericPackedTensorAccessorINS7_14TensorAccessorINS3_8ArrayRefIlEEKT_Lm3ENS6_16DefaultPtrTraitsElEENS_6detail16IndexBoundsCheckILm4ElEESD_Lm4ESE_lEENS8_INS9_ISB_SC_Lm3ESE_lEESI_SC_Lm4ESE_lEEiiii.kd
    .uniform_work_group_size: 1
    .uses_dynamic_stack: false
    .vgpr_count:     18
    .vgpr_spill_count: 0
    .wavefront_size: 32
  - .args:
      - .offset:         0
        .size:           72
        .value_kind:     by_value
      - .offset:         72
        .size:           72
        .value_kind:     by_value
      - .offset:         144
        .size:           4
        .value_kind:     by_value
      - .offset:         148
        .size:           4
        .value_kind:     by_value
      - .offset:         152
        .size:           4
        .value_kind:     by_value
      - .offset:         156
        .size:           4
        .value_kind:     by_value
      - .offset:         160
        .size:           4
        .value_kind:     hidden_block_count_x
      - .offset:         164
        .size:           4
        .value_kind:     hidden_block_count_y
      - .offset:         168
        .size:           4
        .value_kind:     hidden_block_count_z
      - .offset:         172
        .size:           2
        .value_kind:     hidden_group_size_x
      - .offset:         174
        .size:           2
        .value_kind:     hidden_group_size_y
      - .offset:         176
        .size:           2
        .value_kind:     hidden_group_size_z
      - .offset:         178
        .size:           2
        .value_kind:     hidden_remainder_x
      - .offset:         180
        .size:           2
        .value_kind:     hidden_remainder_y
      - .offset:         182
        .size:           2
        .value_kind:     hidden_remainder_z
      - .offset:         200
        .size:           8
        .value_kind:     hidden_global_offset_x
      - .offset:         208
        .size:           8
        .value_kind:     hidden_global_offset_y
      - .offset:         216
        .size:           8
        .value_kind:     hidden_global_offset_z
      - .offset:         224
        .size:           2
        .value_kind:     hidden_grid_dims
    .group_segment_fixed_size: 0
    .kernarg_segment_align: 8
    .kernarg_segment_size: 416
    .language:       OpenCL C
    .language_version:
      - 2
      - 0
    .max_flat_workgroup_size: 1024
    .name:           _ZN2at6native12_GLOBAL__N_132replication_pad_forward_kernel2dIN3c108BFloat16EEEvN5torch10headeronly6detail27GenericPackedTensorAccessorINS7_14TensorAccessorINS3_8ArrayRefIlEEKT_Lm3ENS6_16DefaultPtrTraitsElEENS_6detail16IndexBoundsCheckILm4ElEESD_Lm4ESE_lEENS8_INS9_ISB_SC_Lm3ESE_lEESI_SC_Lm4ESE_lEEiiii
    .private_segment_fixed_size: 0
    .sgpr_count:     24
    .sgpr_spill_count: 0
    .symbol:         _ZN2at6native12_GLOBAL__N_132replication_pad_forward_kernel2dIN3c108BFloat16EEEvN5torch10headeronly6detail27GenericPackedTensorAccessorINS7_14TensorAccessorINS3_8ArrayRefIlEEKT_Lm3ENS6_16DefaultPtrTraitsElEENS_6detail16IndexBoundsCheckILm4ElEESD_Lm4ESE_lEENS8_INS9_ISB_SC_Lm3ESE_lEESI_SC_Lm4ESE_lEEiiii.kd
    .uniform_work_group_size: 1
    .uses_dynamic_stack: false
    .vgpr_count:     18
    .vgpr_spill_count: 0
    .wavefront_size: 32
  - .args:
      - .offset:         0
        .size:           88
        .value_kind:     by_value
      - .offset:         88
        .size:           88
        .value_kind:     by_value
      - .offset:         176
        .size:           4
        .value_kind:     by_value
      - .offset:         180
        .size:           4
        .value_kind:     by_value
      - .offset:         184
        .size:           4
        .value_kind:     by_value
      - .offset:         188
        .size:           4
        .value_kind:     by_value
      - .offset:         192
        .size:           4
        .value_kind:     by_value
      - .offset:         200
        .size:           4
        .value_kind:     hidden_block_count_x
      - .offset:         204
        .size:           4
        .value_kind:     hidden_block_count_y
      - .offset:         208
        .size:           4
        .value_kind:     hidden_block_count_z
      - .offset:         212
        .size:           2
        .value_kind:     hidden_group_size_x
      - .offset:         214
        .size:           2
        .value_kind:     hidden_group_size_y
      - .offset:         216
        .size:           2
        .value_kind:     hidden_group_size_z
      - .offset:         218
        .size:           2
        .value_kind:     hidden_remainder_x
      - .offset:         220
        .size:           2
        .value_kind:     hidden_remainder_y
      - .offset:         222
        .size:           2
        .value_kind:     hidden_remainder_z
      - .offset:         240
        .size:           8
        .value_kind:     hidden_global_offset_x
      - .offset:         248
        .size:           8
        .value_kind:     hidden_global_offset_y
      - .offset:         256
        .size:           8
        .value_kind:     hidden_global_offset_z
      - .offset:         264
        .size:           2
        .value_kind:     hidden_grid_dims
    .group_segment_fixed_size: 0
    .kernarg_segment_align: 8
    .kernarg_segment_size: 456
    .language:       OpenCL C
    .language_version:
      - 2
      - 0
    .max_flat_workgroup_size: 1024
    .name:           _ZN2at6native12_GLOBAL__N_132replication_pad_forward_kernel3dIhEEvN5torch10headeronly6detail27GenericPackedTensorAccessorINS5_14TensorAccessorIN3c108ArrayRefIlEEKT_Lm4ENS4_16DefaultPtrTraitsElEENS_6detail16IndexBoundsCheckILm5ElEESC_Lm5ESD_lEENS6_INS7_ISA_SB_Lm4ESD_lEESH_SB_Lm5ESD_lEEiiiii
    .private_segment_fixed_size: 0
    .sgpr_count:     34
    .sgpr_spill_count: 0
    .symbol:         _ZN2at6native12_GLOBAL__N_132replication_pad_forward_kernel3dIhEEvN5torch10headeronly6detail27GenericPackedTensorAccessorINS5_14TensorAccessorIN3c108ArrayRefIlEEKT_Lm4ENS4_16DefaultPtrTraitsElEENS_6detail16IndexBoundsCheckILm5ElEESC_Lm5ESD_lEENS6_INS7_ISA_SB_Lm4ESD_lEESH_SB_Lm5ESD_lEEiiiii.kd
    .uniform_work_group_size: 1
    .uses_dynamic_stack: false
    .vgpr_count:     22
    .vgpr_spill_count: 0
    .wavefront_size: 32
  - .args:
      - .offset:         0
        .size:           88
        .value_kind:     by_value
      - .offset:         88
        .size:           88
        .value_kind:     by_value
      - .offset:         176
        .size:           4
        .value_kind:     by_value
      - .offset:         180
        .size:           4
        .value_kind:     by_value
      - .offset:         184
        .size:           4
        .value_kind:     by_value
      - .offset:         188
        .size:           4
        .value_kind:     by_value
      - .offset:         192
        .size:           4
        .value_kind:     by_value
      - .offset:         200
        .size:           4
        .value_kind:     hidden_block_count_x
      - .offset:         204
        .size:           4
        .value_kind:     hidden_block_count_y
      - .offset:         208
        .size:           4
        .value_kind:     hidden_block_count_z
      - .offset:         212
        .size:           2
        .value_kind:     hidden_group_size_x
      - .offset:         214
        .size:           2
        .value_kind:     hidden_group_size_y
      - .offset:         216
        .size:           2
        .value_kind:     hidden_group_size_z
      - .offset:         218
        .size:           2
        .value_kind:     hidden_remainder_x
      - .offset:         220
        .size:           2
        .value_kind:     hidden_remainder_y
      - .offset:         222
        .size:           2
        .value_kind:     hidden_remainder_z
      - .offset:         240
        .size:           8
        .value_kind:     hidden_global_offset_x
      - .offset:         248
        .size:           8
        .value_kind:     hidden_global_offset_y
      - .offset:         256
        .size:           8
        .value_kind:     hidden_global_offset_z
      - .offset:         264
        .size:           2
        .value_kind:     hidden_grid_dims
    .group_segment_fixed_size: 0
    .kernarg_segment_align: 8
    .kernarg_segment_size: 456
    .language:       OpenCL C
    .language_version:
      - 2
      - 0
    .max_flat_workgroup_size: 1024
    .name:           _ZN2at6native12_GLOBAL__N_132replication_pad_forward_kernel3dIaEEvN5torch10headeronly6detail27GenericPackedTensorAccessorINS5_14TensorAccessorIN3c108ArrayRefIlEEKT_Lm4ENS4_16DefaultPtrTraitsElEENS_6detail16IndexBoundsCheckILm5ElEESC_Lm5ESD_lEENS6_INS7_ISA_SB_Lm4ESD_lEESH_SB_Lm5ESD_lEEiiiii
    .private_segment_fixed_size: 0
    .sgpr_count:     34
    .sgpr_spill_count: 0
    .symbol:         _ZN2at6native12_GLOBAL__N_132replication_pad_forward_kernel3dIaEEvN5torch10headeronly6detail27GenericPackedTensorAccessorINS5_14TensorAccessorIN3c108ArrayRefIlEEKT_Lm4ENS4_16DefaultPtrTraitsElEENS_6detail16IndexBoundsCheckILm5ElEESC_Lm5ESD_lEENS6_INS7_ISA_SB_Lm4ESD_lEESH_SB_Lm5ESD_lEEiiiii.kd
    .uniform_work_group_size: 1
    .uses_dynamic_stack: false
    .vgpr_count:     22
    .vgpr_spill_count: 0
    .wavefront_size: 32
  - .args:
      - .offset:         0
        .size:           88
        .value_kind:     by_value
      - .offset:         88
        .size:           88
        .value_kind:     by_value
      - .offset:         176
        .size:           4
        .value_kind:     by_value
      - .offset:         180
        .size:           4
        .value_kind:     by_value
      - .offset:         184
        .size:           4
        .value_kind:     by_value
      - .offset:         188
        .size:           4
        .value_kind:     by_value
      - .offset:         192
        .size:           4
        .value_kind:     by_value
      - .offset:         200
        .size:           4
        .value_kind:     hidden_block_count_x
      - .offset:         204
        .size:           4
        .value_kind:     hidden_block_count_y
      - .offset:         208
        .size:           4
        .value_kind:     hidden_block_count_z
      - .offset:         212
        .size:           2
        .value_kind:     hidden_group_size_x
      - .offset:         214
        .size:           2
        .value_kind:     hidden_group_size_y
      - .offset:         216
        .size:           2
        .value_kind:     hidden_group_size_z
      - .offset:         218
        .size:           2
        .value_kind:     hidden_remainder_x
      - .offset:         220
        .size:           2
        .value_kind:     hidden_remainder_y
      - .offset:         222
        .size:           2
        .value_kind:     hidden_remainder_z
      - .offset:         240
        .size:           8
        .value_kind:     hidden_global_offset_x
      - .offset:         248
        .size:           8
        .value_kind:     hidden_global_offset_y
      - .offset:         256
        .size:           8
        .value_kind:     hidden_global_offset_z
      - .offset:         264
        .size:           2
        .value_kind:     hidden_grid_dims
    .group_segment_fixed_size: 0
    .kernarg_segment_align: 8
    .kernarg_segment_size: 456
    .language:       OpenCL C
    .language_version:
      - 2
      - 0
    .max_flat_workgroup_size: 1024
    .name:           _ZN2at6native12_GLOBAL__N_132replication_pad_forward_kernel3dIiEEvN5torch10headeronly6detail27GenericPackedTensorAccessorINS5_14TensorAccessorIN3c108ArrayRefIlEEKT_Lm4ENS4_16DefaultPtrTraitsElEENS_6detail16IndexBoundsCheckILm5ElEESC_Lm5ESD_lEENS6_INS7_ISA_SB_Lm4ESD_lEESH_SB_Lm5ESD_lEEiiiii
    .private_segment_fixed_size: 0
    .sgpr_count:     31
    .sgpr_spill_count: 0
    .symbol:         _ZN2at6native12_GLOBAL__N_132replication_pad_forward_kernel3dIiEEvN5torch10headeronly6detail27GenericPackedTensorAccessorINS5_14TensorAccessorIN3c108ArrayRefIlEEKT_Lm4ENS4_16DefaultPtrTraitsElEENS_6detail16IndexBoundsCheckILm5ElEESC_Lm5ESD_lEENS6_INS7_ISA_SB_Lm4ESD_lEESH_SB_Lm5ESD_lEEiiiii.kd
    .uniform_work_group_size: 1
    .uses_dynamic_stack: false
    .vgpr_count:     22
    .vgpr_spill_count: 0
    .wavefront_size: 32
  - .args:
      - .offset:         0
        .size:           88
        .value_kind:     by_value
      - .offset:         88
        .size:           88
        .value_kind:     by_value
      - .offset:         176
        .size:           4
        .value_kind:     by_value
      - .offset:         180
        .size:           4
        .value_kind:     by_value
      - .offset:         184
        .size:           4
        .value_kind:     by_value
      - .offset:         188
        .size:           4
        .value_kind:     by_value
      - .offset:         192
        .size:           4
        .value_kind:     by_value
      - .offset:         200
        .size:           4
        .value_kind:     hidden_block_count_x
      - .offset:         204
        .size:           4
        .value_kind:     hidden_block_count_y
      - .offset:         208
        .size:           4
        .value_kind:     hidden_block_count_z
      - .offset:         212
        .size:           2
        .value_kind:     hidden_group_size_x
      - .offset:         214
        .size:           2
        .value_kind:     hidden_group_size_y
      - .offset:         216
        .size:           2
        .value_kind:     hidden_group_size_z
      - .offset:         218
        .size:           2
        .value_kind:     hidden_remainder_x
      - .offset:         220
        .size:           2
        .value_kind:     hidden_remainder_y
      - .offset:         222
        .size:           2
        .value_kind:     hidden_remainder_z
      - .offset:         240
        .size:           8
        .value_kind:     hidden_global_offset_x
      - .offset:         248
        .size:           8
        .value_kind:     hidden_global_offset_y
      - .offset:         256
        .size:           8
        .value_kind:     hidden_global_offset_z
      - .offset:         264
        .size:           2
        .value_kind:     hidden_grid_dims
    .group_segment_fixed_size: 0
    .kernarg_segment_align: 8
    .kernarg_segment_size: 456
    .language:       OpenCL C
    .language_version:
      - 2
      - 0
    .max_flat_workgroup_size: 1024
    .name:           _ZN2at6native12_GLOBAL__N_132replication_pad_forward_kernel3dIlEEvN5torch10headeronly6detail27GenericPackedTensorAccessorINS5_14TensorAccessorIN3c108ArrayRefIlEEKT_Lm4ENS4_16DefaultPtrTraitsElEENS_6detail16IndexBoundsCheckILm5ElEESC_Lm5ESD_lEENS6_INS7_ISA_SB_Lm4ESD_lEESH_SB_Lm5ESD_lEEiiiii
    .private_segment_fixed_size: 0
    .sgpr_count:     31
    .sgpr_spill_count: 0
    .symbol:         _ZN2at6native12_GLOBAL__N_132replication_pad_forward_kernel3dIlEEvN5torch10headeronly6detail27GenericPackedTensorAccessorINS5_14TensorAccessorIN3c108ArrayRefIlEEKT_Lm4ENS4_16DefaultPtrTraitsElEENS_6detail16IndexBoundsCheckILm5ElEESC_Lm5ESD_lEENS6_INS7_ISA_SB_Lm4ESD_lEESH_SB_Lm5ESD_lEEiiiii.kd
    .uniform_work_group_size: 1
    .uses_dynamic_stack: false
    .vgpr_count:     22
    .vgpr_spill_count: 0
    .wavefront_size: 32
  - .args:
      - .offset:         0
        .size:           88
        .value_kind:     by_value
      - .offset:         88
        .size:           88
        .value_kind:     by_value
      - .offset:         176
        .size:           4
        .value_kind:     by_value
      - .offset:         180
        .size:           4
        .value_kind:     by_value
      - .offset:         184
        .size:           4
        .value_kind:     by_value
      - .offset:         188
        .size:           4
        .value_kind:     by_value
      - .offset:         192
        .size:           4
        .value_kind:     by_value
      - .offset:         200
        .size:           4
        .value_kind:     hidden_block_count_x
      - .offset:         204
        .size:           4
        .value_kind:     hidden_block_count_y
      - .offset:         208
        .size:           4
        .value_kind:     hidden_block_count_z
      - .offset:         212
        .size:           2
        .value_kind:     hidden_group_size_x
      - .offset:         214
        .size:           2
        .value_kind:     hidden_group_size_y
      - .offset:         216
        .size:           2
        .value_kind:     hidden_group_size_z
      - .offset:         218
        .size:           2
        .value_kind:     hidden_remainder_x
      - .offset:         220
        .size:           2
        .value_kind:     hidden_remainder_y
      - .offset:         222
        .size:           2
        .value_kind:     hidden_remainder_z
      - .offset:         240
        .size:           8
        .value_kind:     hidden_global_offset_x
      - .offset:         248
        .size:           8
        .value_kind:     hidden_global_offset_y
      - .offset:         256
        .size:           8
        .value_kind:     hidden_global_offset_z
      - .offset:         264
        .size:           2
        .value_kind:     hidden_grid_dims
    .group_segment_fixed_size: 0
    .kernarg_segment_align: 8
    .kernarg_segment_size: 456
    .language:       OpenCL C
    .language_version:
      - 2
      - 0
    .max_flat_workgroup_size: 1024
    .name:           _ZN2at6native12_GLOBAL__N_132replication_pad_forward_kernel3dIsEEvN5torch10headeronly6detail27GenericPackedTensorAccessorINS5_14TensorAccessorIN3c108ArrayRefIlEEKT_Lm4ENS4_16DefaultPtrTraitsElEENS_6detail16IndexBoundsCheckILm5ElEESC_Lm5ESD_lEENS6_INS7_ISA_SB_Lm4ESD_lEESH_SB_Lm5ESD_lEEiiiii
    .private_segment_fixed_size: 0
    .sgpr_count:     31
    .sgpr_spill_count: 0
    .symbol:         _ZN2at6native12_GLOBAL__N_132replication_pad_forward_kernel3dIsEEvN5torch10headeronly6detail27GenericPackedTensorAccessorINS5_14TensorAccessorIN3c108ArrayRefIlEEKT_Lm4ENS4_16DefaultPtrTraitsElEENS_6detail16IndexBoundsCheckILm5ElEESC_Lm5ESD_lEENS6_INS7_ISA_SB_Lm4ESD_lEESH_SB_Lm5ESD_lEEiiiii.kd
    .uniform_work_group_size: 1
    .uses_dynamic_stack: false
    .vgpr_count:     22
    .vgpr_spill_count: 0
    .wavefront_size: 32
  - .args:
      - .offset:         0
        .size:           88
        .value_kind:     by_value
      - .offset:         88
        .size:           88
        .value_kind:     by_value
      - .offset:         176
        .size:           4
        .value_kind:     by_value
      - .offset:         180
        .size:           4
        .value_kind:     by_value
      - .offset:         184
        .size:           4
        .value_kind:     by_value
      - .offset:         188
        .size:           4
        .value_kind:     by_value
      - .offset:         192
        .size:           4
        .value_kind:     by_value
      - .offset:         200
        .size:           4
        .value_kind:     hidden_block_count_x
      - .offset:         204
        .size:           4
        .value_kind:     hidden_block_count_y
      - .offset:         208
        .size:           4
        .value_kind:     hidden_block_count_z
      - .offset:         212
        .size:           2
        .value_kind:     hidden_group_size_x
      - .offset:         214
        .size:           2
        .value_kind:     hidden_group_size_y
      - .offset:         216
        .size:           2
        .value_kind:     hidden_group_size_z
      - .offset:         218
        .size:           2
        .value_kind:     hidden_remainder_x
      - .offset:         220
        .size:           2
        .value_kind:     hidden_remainder_y
      - .offset:         222
        .size:           2
        .value_kind:     hidden_remainder_z
      - .offset:         240
        .size:           8
        .value_kind:     hidden_global_offset_x
      - .offset:         248
        .size:           8
        .value_kind:     hidden_global_offset_y
      - .offset:         256
        .size:           8
        .value_kind:     hidden_global_offset_z
      - .offset:         264
        .size:           2
        .value_kind:     hidden_grid_dims
    .group_segment_fixed_size: 0
    .kernarg_segment_align: 8
    .kernarg_segment_size: 456
    .language:       OpenCL C
    .language_version:
      - 2
      - 0
    .max_flat_workgroup_size: 1024
    .name:           _ZN2at6native12_GLOBAL__N_132replication_pad_forward_kernel3dIdEEvN5torch10headeronly6detail27GenericPackedTensorAccessorINS5_14TensorAccessorIN3c108ArrayRefIlEEKT_Lm4ENS4_16DefaultPtrTraitsElEENS_6detail16IndexBoundsCheckILm5ElEESC_Lm5ESD_lEENS6_INS7_ISA_SB_Lm4ESD_lEESH_SB_Lm5ESD_lEEiiiii
    .private_segment_fixed_size: 0
    .sgpr_count:     31
    .sgpr_spill_count: 0
    .symbol:         _ZN2at6native12_GLOBAL__N_132replication_pad_forward_kernel3dIdEEvN5torch10headeronly6detail27GenericPackedTensorAccessorINS5_14TensorAccessorIN3c108ArrayRefIlEEKT_Lm4ENS4_16DefaultPtrTraitsElEENS_6detail16IndexBoundsCheckILm5ElEESC_Lm5ESD_lEENS6_INS7_ISA_SB_Lm4ESD_lEESH_SB_Lm5ESD_lEEiiiii.kd
    .uniform_work_group_size: 1
    .uses_dynamic_stack: false
    .vgpr_count:     22
    .vgpr_spill_count: 0
    .wavefront_size: 32
  - .args:
      - .offset:         0
        .size:           88
        .value_kind:     by_value
      - .offset:         88
        .size:           88
        .value_kind:     by_value
      - .offset:         176
        .size:           4
        .value_kind:     by_value
      - .offset:         180
        .size:           4
        .value_kind:     by_value
      - .offset:         184
        .size:           4
        .value_kind:     by_value
      - .offset:         188
        .size:           4
        .value_kind:     by_value
      - .offset:         192
        .size:           4
        .value_kind:     by_value
      - .offset:         200
        .size:           4
        .value_kind:     hidden_block_count_x
      - .offset:         204
        .size:           4
        .value_kind:     hidden_block_count_y
      - .offset:         208
        .size:           4
        .value_kind:     hidden_block_count_z
      - .offset:         212
        .size:           2
        .value_kind:     hidden_group_size_x
      - .offset:         214
        .size:           2
        .value_kind:     hidden_group_size_y
      - .offset:         216
        .size:           2
        .value_kind:     hidden_group_size_z
      - .offset:         218
        .size:           2
        .value_kind:     hidden_remainder_x
      - .offset:         220
        .size:           2
        .value_kind:     hidden_remainder_y
      - .offset:         222
        .size:           2
        .value_kind:     hidden_remainder_z
      - .offset:         240
        .size:           8
        .value_kind:     hidden_global_offset_x
      - .offset:         248
        .size:           8
        .value_kind:     hidden_global_offset_y
      - .offset:         256
        .size:           8
        .value_kind:     hidden_global_offset_z
      - .offset:         264
        .size:           2
        .value_kind:     hidden_grid_dims
    .group_segment_fixed_size: 0
    .kernarg_segment_align: 8
    .kernarg_segment_size: 456
    .language:       OpenCL C
    .language_version:
      - 2
      - 0
    .max_flat_workgroup_size: 1024
    .name:           _ZN2at6native12_GLOBAL__N_132replication_pad_forward_kernel3dIfEEvN5torch10headeronly6detail27GenericPackedTensorAccessorINS5_14TensorAccessorIN3c108ArrayRefIlEEKT_Lm4ENS4_16DefaultPtrTraitsElEENS_6detail16IndexBoundsCheckILm5ElEESC_Lm5ESD_lEENS6_INS7_ISA_SB_Lm4ESD_lEESH_SB_Lm5ESD_lEEiiiii
    .private_segment_fixed_size: 0
    .sgpr_count:     31
    .sgpr_spill_count: 0
    .symbol:         _ZN2at6native12_GLOBAL__N_132replication_pad_forward_kernel3dIfEEvN5torch10headeronly6detail27GenericPackedTensorAccessorINS5_14TensorAccessorIN3c108ArrayRefIlEEKT_Lm4ENS4_16DefaultPtrTraitsElEENS_6detail16IndexBoundsCheckILm5ElEESC_Lm5ESD_lEENS6_INS7_ISA_SB_Lm4ESD_lEESH_SB_Lm5ESD_lEEiiiii.kd
    .uniform_work_group_size: 1
    .uses_dynamic_stack: false
    .vgpr_count:     22
    .vgpr_spill_count: 0
    .wavefront_size: 32
  - .args:
      - .offset:         0
        .size:           88
        .value_kind:     by_value
      - .offset:         88
        .size:           88
        .value_kind:     by_value
      - .offset:         176
        .size:           4
        .value_kind:     by_value
      - .offset:         180
        .size:           4
        .value_kind:     by_value
      - .offset:         184
        .size:           4
        .value_kind:     by_value
      - .offset:         188
        .size:           4
        .value_kind:     by_value
      - .offset:         192
        .size:           4
        .value_kind:     by_value
      - .offset:         200
        .size:           4
        .value_kind:     hidden_block_count_x
      - .offset:         204
        .size:           4
        .value_kind:     hidden_block_count_y
      - .offset:         208
        .size:           4
        .value_kind:     hidden_block_count_z
      - .offset:         212
        .size:           2
        .value_kind:     hidden_group_size_x
      - .offset:         214
        .size:           2
        .value_kind:     hidden_group_size_y
      - .offset:         216
        .size:           2
        .value_kind:     hidden_group_size_z
      - .offset:         218
        .size:           2
        .value_kind:     hidden_remainder_x
      - .offset:         220
        .size:           2
        .value_kind:     hidden_remainder_y
      - .offset:         222
        .size:           2
        .value_kind:     hidden_remainder_z
      - .offset:         240
        .size:           8
        .value_kind:     hidden_global_offset_x
      - .offset:         248
        .size:           8
        .value_kind:     hidden_global_offset_y
      - .offset:         256
        .size:           8
        .value_kind:     hidden_global_offset_z
      - .offset:         264
        .size:           2
        .value_kind:     hidden_grid_dims
    .group_segment_fixed_size: 0
    .kernarg_segment_align: 8
    .kernarg_segment_size: 456
    .language:       OpenCL C
    .language_version:
      - 2
      - 0
    .max_flat_workgroup_size: 1024
    .name:           _ZN2at6native12_GLOBAL__N_132replication_pad_forward_kernel3dIN3c107complexIdEEEEvN5torch10headeronly6detail27GenericPackedTensorAccessorINS8_14TensorAccessorINS3_8ArrayRefIlEEKT_Lm4ENS7_16DefaultPtrTraitsElEENS_6detail16IndexBoundsCheckILm5ElEESE_Lm5ESF_lEENS9_INSA_ISC_SD_Lm4ESF_lEESJ_SD_Lm5ESF_lEEiiiii
    .private_segment_fixed_size: 0
    .sgpr_count:     31
    .sgpr_spill_count: 0
    .symbol:         _ZN2at6native12_GLOBAL__N_132replication_pad_forward_kernel3dIN3c107complexIdEEEEvN5torch10headeronly6detail27GenericPackedTensorAccessorINS8_14TensorAccessorINS3_8ArrayRefIlEEKT_Lm4ENS7_16DefaultPtrTraitsElEENS_6detail16IndexBoundsCheckILm5ElEESE_Lm5ESF_lEENS9_INSA_ISC_SD_Lm4ESF_lEESJ_SD_Lm5ESF_lEEiiiii.kd
    .uniform_work_group_size: 1
    .uses_dynamic_stack: false
    .vgpr_count:     22
    .vgpr_spill_count: 0
    .wavefront_size: 32
  - .args:
      - .offset:         0
        .size:           88
        .value_kind:     by_value
      - .offset:         88
        .size:           88
        .value_kind:     by_value
      - .offset:         176
        .size:           4
        .value_kind:     by_value
      - .offset:         180
        .size:           4
        .value_kind:     by_value
      - .offset:         184
        .size:           4
        .value_kind:     by_value
      - .offset:         188
        .size:           4
        .value_kind:     by_value
      - .offset:         192
        .size:           4
        .value_kind:     by_value
      - .offset:         200
        .size:           4
        .value_kind:     hidden_block_count_x
      - .offset:         204
        .size:           4
        .value_kind:     hidden_block_count_y
      - .offset:         208
        .size:           4
        .value_kind:     hidden_block_count_z
      - .offset:         212
        .size:           2
        .value_kind:     hidden_group_size_x
      - .offset:         214
        .size:           2
        .value_kind:     hidden_group_size_y
      - .offset:         216
        .size:           2
        .value_kind:     hidden_group_size_z
      - .offset:         218
        .size:           2
        .value_kind:     hidden_remainder_x
      - .offset:         220
        .size:           2
        .value_kind:     hidden_remainder_y
      - .offset:         222
        .size:           2
        .value_kind:     hidden_remainder_z
      - .offset:         240
        .size:           8
        .value_kind:     hidden_global_offset_x
      - .offset:         248
        .size:           8
        .value_kind:     hidden_global_offset_y
      - .offset:         256
        .size:           8
        .value_kind:     hidden_global_offset_z
      - .offset:         264
        .size:           2
        .value_kind:     hidden_grid_dims
    .group_segment_fixed_size: 0
    .kernarg_segment_align: 8
    .kernarg_segment_size: 456
    .language:       OpenCL C
    .language_version:
      - 2
      - 0
    .max_flat_workgroup_size: 1024
    .name:           _ZN2at6native12_GLOBAL__N_132replication_pad_forward_kernel3dIN3c107complexIfEEEEvN5torch10headeronly6detail27GenericPackedTensorAccessorINS8_14TensorAccessorINS3_8ArrayRefIlEEKT_Lm4ENS7_16DefaultPtrTraitsElEENS_6detail16IndexBoundsCheckILm5ElEESE_Lm5ESF_lEENS9_INSA_ISC_SD_Lm4ESF_lEESJ_SD_Lm5ESF_lEEiiiii
    .private_segment_fixed_size: 0
    .sgpr_count:     31
    .sgpr_spill_count: 0
    .symbol:         _ZN2at6native12_GLOBAL__N_132replication_pad_forward_kernel3dIN3c107complexIfEEEEvN5torch10headeronly6detail27GenericPackedTensorAccessorINS8_14TensorAccessorINS3_8ArrayRefIlEEKT_Lm4ENS7_16DefaultPtrTraitsElEENS_6detail16IndexBoundsCheckILm5ElEESE_Lm5ESF_lEENS9_INSA_ISC_SD_Lm4ESF_lEESJ_SD_Lm5ESF_lEEiiiii.kd
    .uniform_work_group_size: 1
    .uses_dynamic_stack: false
    .vgpr_count:     22
    .vgpr_spill_count: 0
    .wavefront_size: 32
  - .args:
      - .offset:         0
        .size:           88
        .value_kind:     by_value
      - .offset:         88
        .size:           88
        .value_kind:     by_value
      - .offset:         176
        .size:           4
        .value_kind:     by_value
      - .offset:         180
        .size:           4
        .value_kind:     by_value
      - .offset:         184
        .size:           4
        .value_kind:     by_value
      - .offset:         188
        .size:           4
        .value_kind:     by_value
      - .offset:         192
        .size:           4
        .value_kind:     by_value
      - .offset:         200
        .size:           4
        .value_kind:     hidden_block_count_x
      - .offset:         204
        .size:           4
        .value_kind:     hidden_block_count_y
      - .offset:         208
        .size:           4
        .value_kind:     hidden_block_count_z
      - .offset:         212
        .size:           2
        .value_kind:     hidden_group_size_x
      - .offset:         214
        .size:           2
        .value_kind:     hidden_group_size_y
      - .offset:         216
        .size:           2
        .value_kind:     hidden_group_size_z
      - .offset:         218
        .size:           2
        .value_kind:     hidden_remainder_x
      - .offset:         220
        .size:           2
        .value_kind:     hidden_remainder_y
      - .offset:         222
        .size:           2
        .value_kind:     hidden_remainder_z
      - .offset:         240
        .size:           8
        .value_kind:     hidden_global_offset_x
      - .offset:         248
        .size:           8
        .value_kind:     hidden_global_offset_y
      - .offset:         256
        .size:           8
        .value_kind:     hidden_global_offset_z
      - .offset:         264
        .size:           2
        .value_kind:     hidden_grid_dims
    .group_segment_fixed_size: 0
    .kernarg_segment_align: 8
    .kernarg_segment_size: 456
    .language:       OpenCL C
    .language_version:
      - 2
      - 0
    .max_flat_workgroup_size: 1024
    .name:           _ZN2at6native12_GLOBAL__N_132replication_pad_forward_kernel3dIN3c104HalfEEEvN5torch10headeronly6detail27GenericPackedTensorAccessorINS7_14TensorAccessorINS3_8ArrayRefIlEEKT_Lm4ENS6_16DefaultPtrTraitsElEENS_6detail16IndexBoundsCheckILm5ElEESD_Lm5ESE_lEENS8_INS9_ISB_SC_Lm4ESE_lEESI_SC_Lm5ESE_lEEiiiii
    .private_segment_fixed_size: 0
    .sgpr_count:     31
    .sgpr_spill_count: 0
    .symbol:         _ZN2at6native12_GLOBAL__N_132replication_pad_forward_kernel3dIN3c104HalfEEEvN5torch10headeronly6detail27GenericPackedTensorAccessorINS7_14TensorAccessorINS3_8ArrayRefIlEEKT_Lm4ENS6_16DefaultPtrTraitsElEENS_6detail16IndexBoundsCheckILm5ElEESD_Lm5ESE_lEENS8_INS9_ISB_SC_Lm4ESE_lEESI_SC_Lm5ESE_lEEiiiii.kd
    .uniform_work_group_size: 1
    .uses_dynamic_stack: false
    .vgpr_count:     22
    .vgpr_spill_count: 0
    .wavefront_size: 32
  - .args:
      - .offset:         0
        .size:           88
        .value_kind:     by_value
      - .offset:         88
        .size:           88
        .value_kind:     by_value
      - .offset:         176
        .size:           4
        .value_kind:     by_value
      - .offset:         180
        .size:           4
        .value_kind:     by_value
      - .offset:         184
        .size:           4
        .value_kind:     by_value
      - .offset:         188
        .size:           4
        .value_kind:     by_value
      - .offset:         192
        .size:           4
        .value_kind:     by_value
      - .offset:         200
        .size:           4
        .value_kind:     hidden_block_count_x
      - .offset:         204
        .size:           4
        .value_kind:     hidden_block_count_y
      - .offset:         208
        .size:           4
        .value_kind:     hidden_block_count_z
      - .offset:         212
        .size:           2
        .value_kind:     hidden_group_size_x
      - .offset:         214
        .size:           2
        .value_kind:     hidden_group_size_y
      - .offset:         216
        .size:           2
        .value_kind:     hidden_group_size_z
      - .offset:         218
        .size:           2
        .value_kind:     hidden_remainder_x
      - .offset:         220
        .size:           2
        .value_kind:     hidden_remainder_y
      - .offset:         222
        .size:           2
        .value_kind:     hidden_remainder_z
      - .offset:         240
        .size:           8
        .value_kind:     hidden_global_offset_x
      - .offset:         248
        .size:           8
        .value_kind:     hidden_global_offset_y
      - .offset:         256
        .size:           8
        .value_kind:     hidden_global_offset_z
      - .offset:         264
        .size:           2
        .value_kind:     hidden_grid_dims
    .group_segment_fixed_size: 0
    .kernarg_segment_align: 8
    .kernarg_segment_size: 456
    .language:       OpenCL C
    .language_version:
      - 2
      - 0
    .max_flat_workgroup_size: 1024
    .name:           _ZN2at6native12_GLOBAL__N_132replication_pad_forward_kernel3dIN3c108BFloat16EEEvN5torch10headeronly6detail27GenericPackedTensorAccessorINS7_14TensorAccessorINS3_8ArrayRefIlEEKT_Lm4ENS6_16DefaultPtrTraitsElEENS_6detail16IndexBoundsCheckILm5ElEESD_Lm5ESE_lEENS8_INS9_ISB_SC_Lm4ESE_lEESI_SC_Lm5ESE_lEEiiiii
    .private_segment_fixed_size: 0
    .sgpr_count:     31
    .sgpr_spill_count: 0
    .symbol:         _ZN2at6native12_GLOBAL__N_132replication_pad_forward_kernel3dIN3c108BFloat16EEEvN5torch10headeronly6detail27GenericPackedTensorAccessorINS7_14TensorAccessorINS3_8ArrayRefIlEEKT_Lm4ENS6_16DefaultPtrTraitsElEENS_6detail16IndexBoundsCheckILm5ElEESD_Lm5ESE_lEENS8_INS9_ISB_SC_Lm4ESE_lEESI_SC_Lm5ESE_lEEiiiii.kd
    .uniform_work_group_size: 1
    .uses_dynamic_stack: false
    .vgpr_count:     22
    .vgpr_spill_count: 0
    .wavefront_size: 32
amdhsa.target:   amdgcn-amd-amdhsa--gfx1250
amdhsa.version:
  - 1
  - 2
...

	.end_amdgpu_metadata
